;; amdgpu-corpus repo=ROCm/rocFFT kind=compiled arch=gfx950 opt=O3
	.text
	.amdgcn_target "amdgcn-amd-amdhsa--gfx950"
	.amdhsa_code_object_version 6
	.protected	fft_rtc_fwd_len952_factors_17_4_2_7_wgs_204_tpt_68_halfLds_dp_op_CI_CI_unitstride_sbrr_C2R_dirReg ; -- Begin function fft_rtc_fwd_len952_factors_17_4_2_7_wgs_204_tpt_68_halfLds_dp_op_CI_CI_unitstride_sbrr_C2R_dirReg
	.globl	fft_rtc_fwd_len952_factors_17_4_2_7_wgs_204_tpt_68_halfLds_dp_op_CI_CI_unitstride_sbrr_C2R_dirReg
	.p2align	8
	.type	fft_rtc_fwd_len952_factors_17_4_2_7_wgs_204_tpt_68_halfLds_dp_op_CI_CI_unitstride_sbrr_C2R_dirReg,@function
fft_rtc_fwd_len952_factors_17_4_2_7_wgs_204_tpt_68_halfLds_dp_op_CI_CI_unitstride_sbrr_C2R_dirReg: ; @fft_rtc_fwd_len952_factors_17_4_2_7_wgs_204_tpt_68_halfLds_dp_op_CI_CI_unitstride_sbrr_C2R_dirReg
; %bb.0:
	s_load_dwordx4 s[4:7], s[0:1], 0x58
	s_load_dwordx4 s[8:11], s[0:1], 0x0
	;; [unrolled: 1-line block ×3, first 2 shown]
	v_mul_u32_u24_e32 v1, 0x3c4, v0
	v_lshrrev_b32_e32 v2, 16, v1
	v_mad_u64_u32 v[4:5], s[2:3], s2, 3, v[2:3]
	v_mov_b32_e32 v6, 0
	v_mov_b32_e32 v5, v6
	s_waitcnt lgkmcnt(0)
	v_cmp_lt_u64_e64 s[2:3], s[10:11], 2
	v_mov_b64_e32 v[2:3], 0
	s_and_b64 vcc, exec, s[2:3]
	v_mov_b64_e32 v[116:117], v[2:3]
	v_mov_b64_e32 v[118:119], v[4:5]
	s_cbranch_vccnz .LBB0_8
; %bb.1:
	s_load_dwordx2 s[2:3], s[0:1], 0x10
	s_add_u32 s16, s14, 8
	s_addc_u32 s17, s15, 0
	s_add_u32 s18, s12, 8
	s_addc_u32 s19, s13, 0
	s_waitcnt lgkmcnt(0)
	s_add_u32 s20, s2, 8
	v_mov_b64_e32 v[2:3], 0
	s_addc_u32 s21, s3, 0
	s_mov_b64 s[22:23], 1
	v_mov_b64_e32 v[116:117], v[2:3]
	v_mov_b64_e32 v[8:9], v[4:5]
.LBB0_2:                                ; =>This Inner Loop Header: Depth=1
	s_load_dwordx2 s[24:25], s[20:21], 0x0
                                        ; implicit-def: $vgpr118_vgpr119
	s_waitcnt lgkmcnt(0)
	v_or_b32_e32 v7, s25, v9
	v_cmp_ne_u64_e32 vcc, 0, v[6:7]
	s_and_saveexec_b64 s[2:3], vcc
	s_xor_b64 s[26:27], exec, s[2:3]
	s_cbranch_execz .LBB0_4
; %bb.3:                                ;   in Loop: Header=BB0_2 Depth=1
	v_cvt_f32_u32_e32 v1, s24
	v_cvt_f32_u32_e32 v5, s25
	s_sub_u32 s2, 0, s24
	s_subb_u32 s3, 0, s25
	v_fmac_f32_e32 v1, 0x4f800000, v5
	v_rcp_f32_e32 v1, v1
	s_nop 0
	v_mul_f32_e32 v1, 0x5f7ffffc, v1
	v_mul_f32_e32 v5, 0x2f800000, v1
	v_trunc_f32_e32 v5, v5
	v_fmac_f32_e32 v1, 0xcf800000, v5
	v_cvt_u32_f32_e32 v5, v5
	v_cvt_u32_f32_e32 v1, v1
	v_mul_lo_u32 v7, s2, v5
	v_mul_hi_u32 v10, s2, v1
	v_mul_lo_u32 v11, s3, v1
	v_add_u32_e32 v7, v10, v7
	v_mul_lo_u32 v14, s2, v1
	v_add_u32_e32 v7, v7, v11
	v_mul_hi_u32 v10, v1, v14
	v_mul_hi_u32 v13, v1, v7
	v_mul_lo_u32 v12, v1, v7
	v_mov_b32_e32 v11, v6
	v_lshl_add_u64 v[10:11], v[10:11], 0, v[12:13]
	v_mul_hi_u32 v13, v5, v14
	v_mul_lo_u32 v14, v5, v14
	v_add_co_u32_e32 v10, vcc, v10, v14
	v_mul_hi_u32 v12, v5, v7
	s_nop 0
	v_addc_co_u32_e32 v10, vcc, v11, v13, vcc
	v_mov_b32_e32 v11, v6
	s_nop 0
	v_addc_co_u32_e32 v13, vcc, 0, v12, vcc
	v_mul_lo_u32 v12, v5, v7
	v_lshl_add_u64 v[10:11], v[10:11], 0, v[12:13]
	v_add_co_u32_e32 v1, vcc, v1, v10
	v_mul_hi_u32 v10, s2, v1
	s_nop 0
	v_addc_co_u32_e32 v5, vcc, v5, v11, vcc
	v_mul_lo_u32 v7, s2, v5
	v_add_u32_e32 v7, v10, v7
	v_mul_lo_u32 v10, s3, v1
	v_add_u32_e32 v7, v7, v10
	v_mul_lo_u32 v12, s2, v1
	v_mul_hi_u32 v15, v5, v12
	v_mul_lo_u32 v16, v5, v12
	v_mul_hi_u32 v11, v1, v7
	;; [unrolled: 2-line block ×3, first 2 shown]
	v_mov_b32_e32 v13, v6
	v_lshl_add_u64 v[10:11], v[12:13], 0, v[10:11]
	v_add_co_u32_e32 v10, vcc, v10, v16
	v_mul_hi_u32 v14, v5, v7
	s_nop 0
	v_addc_co_u32_e32 v10, vcc, v11, v15, vcc
	v_mul_lo_u32 v12, v5, v7
	s_nop 0
	v_addc_co_u32_e32 v13, vcc, 0, v14, vcc
	v_mov_b32_e32 v11, v6
	v_lshl_add_u64 v[10:11], v[10:11], 0, v[12:13]
	v_add_co_u32_e32 v1, vcc, v1, v10
	v_mul_hi_u32 v12, v8, v1
	s_nop 0
	v_addc_co_u32_e32 v5, vcc, v5, v11, vcc
	v_mad_u64_u32 v[10:11], s[2:3], v8, v5, 0
	v_mov_b32_e32 v13, v6
	v_lshl_add_u64 v[10:11], v[12:13], 0, v[10:11]
	v_mad_u64_u32 v[14:15], s[2:3], v9, v1, 0
	v_add_co_u32_e32 v1, vcc, v10, v14
	v_mad_u64_u32 v[12:13], s[2:3], v9, v5, 0
	s_nop 0
	v_addc_co_u32_e32 v10, vcc, v11, v15, vcc
	v_mov_b32_e32 v11, v6
	s_nop 0
	v_addc_co_u32_e32 v13, vcc, 0, v13, vcc
	v_lshl_add_u64 v[10:11], v[10:11], 0, v[12:13]
	v_mul_lo_u32 v1, s25, v10
	v_mul_lo_u32 v5, s24, v11
	v_mad_u64_u32 v[12:13], s[2:3], s24, v10, 0
	v_add3_u32 v1, v13, v5, v1
	v_sub_u32_e32 v5, v9, v1
	v_mov_b32_e32 v7, s25
	v_sub_co_u32_e32 v16, vcc, v8, v12
	v_lshl_add_u64 v[14:15], v[10:11], 0, 1
	s_nop 0
	v_subb_co_u32_e64 v5, s[2:3], v5, v7, vcc
	v_subrev_co_u32_e64 v7, s[2:3], s24, v16
	v_subb_co_u32_e32 v1, vcc, v9, v1, vcc
	s_nop 0
	v_subbrev_co_u32_e64 v5, s[2:3], 0, v5, s[2:3]
	v_cmp_le_u32_e64 s[2:3], s25, v5
	v_cmp_le_u32_e32 vcc, s25, v1
	s_nop 0
	v_cndmask_b32_e64 v12, 0, -1, s[2:3]
	v_cmp_le_u32_e64 s[2:3], s24, v7
	s_nop 1
	v_cndmask_b32_e64 v7, 0, -1, s[2:3]
	v_cmp_eq_u32_e64 s[2:3], s25, v5
	s_nop 1
	v_cndmask_b32_e64 v5, v12, v7, s[2:3]
	v_lshl_add_u64 v[12:13], v[10:11], 0, 2
	v_cmp_ne_u32_e64 s[2:3], 0, v5
	v_cndmask_b32_e64 v7, 0, -1, vcc
	v_cmp_le_u32_e32 vcc, s24, v16
	v_cndmask_b32_e64 v5, v15, v13, s[2:3]
	s_nop 0
	v_cndmask_b32_e64 v13, 0, -1, vcc
	v_cmp_eq_u32_e32 vcc, s25, v1
	s_nop 1
	v_cndmask_b32_e32 v1, v7, v13, vcc
	v_cmp_ne_u32_e32 vcc, 0, v1
	v_cndmask_b32_e64 v1, v14, v12, s[2:3]
	s_nop 0
	v_cndmask_b32_e32 v119, v11, v5, vcc
	v_cndmask_b32_e32 v118, v10, v1, vcc
.LBB0_4:                                ;   in Loop: Header=BB0_2 Depth=1
	s_andn2_saveexec_b64 s[2:3], s[26:27]
	s_cbranch_execz .LBB0_6
; %bb.5:                                ;   in Loop: Header=BB0_2 Depth=1
	v_cvt_f32_u32_e32 v1, s24
	s_sub_i32 s26, 0, s24
	v_mov_b32_e32 v119, v6
	v_rcp_iflag_f32_e32 v1, v1
	s_nop 0
	v_mul_f32_e32 v1, 0x4f7ffffe, v1
	v_cvt_u32_f32_e32 v1, v1
	v_mul_lo_u32 v5, s26, v1
	v_mul_hi_u32 v5, v1, v5
	v_add_u32_e32 v1, v1, v5
	v_mul_hi_u32 v1, v8, v1
	v_mul_lo_u32 v5, v1, s24
	v_sub_u32_e32 v5, v8, v5
	v_add_u32_e32 v7, 1, v1
	v_subrev_u32_e32 v10, s24, v5
	v_cmp_le_u32_e32 vcc, s24, v5
	s_nop 1
	v_cndmask_b32_e32 v5, v5, v10, vcc
	v_cndmask_b32_e32 v1, v1, v7, vcc
	v_add_u32_e32 v7, 1, v1
	v_cmp_le_u32_e32 vcc, s24, v5
	s_nop 1
	v_cndmask_b32_e32 v118, v1, v7, vcc
.LBB0_6:                                ;   in Loop: Header=BB0_2 Depth=1
	s_or_b64 exec, exec, s[2:3]
	v_mad_u64_u32 v[10:11], s[2:3], v118, s24, 0
	s_load_dwordx2 s[2:3], s[18:19], 0x0
	s_add_u32 s22, s22, 1
	v_mul_lo_u32 v1, v119, s24
	v_mul_lo_u32 v5, v118, s25
	s_load_dwordx2 s[24:25], s[16:17], 0x0
	s_addc_u32 s23, s23, 0
	v_add3_u32 v1, v11, v5, v1
	v_sub_co_u32_e32 v5, vcc, v8, v10
	s_add_u32 s16, s16, 8
	s_nop 0
	v_subb_co_u32_e32 v1, vcc, v9, v1, vcc
	s_addc_u32 s17, s17, 0
	s_waitcnt lgkmcnt(0)
	v_mul_lo_u32 v7, s2, v1
	v_mul_lo_u32 v8, s3, v5
	v_mad_u64_u32 v[2:3], s[2:3], s2, v5, v[2:3]
	s_add_u32 s18, s18, 8
	v_add3_u32 v3, v8, v3, v7
	s_addc_u32 s19, s19, 0
	v_mov_b64_e32 v[8:9], s[10:11]
	v_mul_lo_u32 v1, s24, v1
	v_mul_lo_u32 v7, s25, v5
	v_mad_u64_u32 v[116:117], s[2:3], s24, v5, v[116:117]
	s_add_u32 s20, s20, 8
	v_cmp_ge_u64_e32 vcc, s[22:23], v[8:9]
	v_add3_u32 v117, v7, v117, v1
	s_addc_u32 s21, s21, 0
	s_cbranch_vccnz .LBB0_8
; %bb.7:                                ;   in Loop: Header=BB0_2 Depth=1
	v_mov_b64_e32 v[8:9], v[118:119]
	s_branch .LBB0_2
.LBB0_8:
	s_load_dwordx2 s[18:19], s[0:1], 0x28
	s_mov_b32 s0, 0xaaaaaaab
	v_mul_hi_u32 v1, v4, s0
	s_lshl_b64 s[16:17], s[10:11], 3
	v_lshrrev_b32_e32 v1, 1, v1
	s_add_u32 s2, s14, s16
	v_lshl_add_u32 v1, v1, 1, v1
	s_addc_u32 s3, s15, s17
	v_sub_u32_e32 v1, v4, v1
	s_waitcnt lgkmcnt(0)
	v_cmp_gt_u64_e64 s[0:1], s[18:19], v[118:119]
	v_cmp_le_u64_e32 vcc, s[18:19], v[118:119]
                                        ; implicit-def: $vgpr120
                                        ; implicit-def: $vgpr230_vgpr231
	s_and_saveexec_b64 s[10:11], vcc
	s_xor_b64 s[10:11], exec, s[10:11]
; %bb.9:
	s_mov_b32 s14, 0x3c3c3c4
	v_mul_hi_u32 v2, v0, s14
	v_mul_u32_u24_e32 v2, 0x44, v2
	v_sub_u32_e32 v120, v0, v2
	v_mov_b32_e32 v121, 0
	v_mov_b64_e32 v[230:231], v[120:121]
                                        ; implicit-def: $vgpr0
                                        ; implicit-def: $vgpr2_vgpr3
; %bb.10:
	s_or_saveexec_b64 s[10:11], s[10:11]
	s_load_dwordx2 s[2:3], s[2:3], 0x0
	v_mul_u32_u24_e32 v12, 0x3b9, v1
	v_lshlrev_b32_e32 v229, 4, v12
	s_xor_b64 exec, exec, s[10:11]
	s_cbranch_execz .LBB0_14
; %bb.11:
	s_add_u32 s12, s12, s16
	s_addc_u32 s13, s13, s17
	s_load_dwordx2 s[12:13], s[12:13], 0x0
	s_mov_b32 s14, 0x3c3c3c4
	v_mov_b32_e32 v121, 0
	s_waitcnt lgkmcnt(0)
	v_mul_lo_u32 v1, s13, v118
	v_mul_lo_u32 v6, s12, v119
	v_mad_u64_u32 v[4:5], s[12:13], s12, v118, 0
	v_add3_u32 v5, v5, v6, v1
	v_mul_hi_u32 v1, v0, s14
	v_mul_u32_u24_e32 v1, 0x44, v1
	v_sub_u32_e32 v120, v0, v1
	v_lshl_add_u64 v[0:1], v[4:5], 4, s[4:5]
	v_lshl_add_u64 v[0:1], v[2:3], 4, v[0:1]
	v_lshlrev_b32_e32 v2, 4, v120
	v_mov_b32_e32 v3, v121
	v_lshl_add_u64 v[54:55], v[0:1], 0, v[2:3]
	s_movk_i32 s4, 0x1000
	v_add_co_u32_e32 v38, vcc, s4, v54
	s_movk_i32 s5, 0x2000
	s_nop 0
	v_addc_co_u32_e32 v39, vcc, 0, v55, vcc
	v_add_co_u32_e32 v56, vcc, s5, v54
	global_load_dwordx4 v[4:7], v[54:55], off
	global_load_dwordx4 v[8:11], v[54:55], off offset:1088
	global_load_dwordx4 v[14:17], v[54:55], off offset:2176
	;; [unrolled: 1-line block ×3, first 2 shown]
	v_addc_co_u32_e32 v57, vcc, 0, v55, vcc
	v_add_co_u32_e32 v62, vcc, 0x3000, v54
	global_load_dwordx4 v[22:25], v[38:39], off offset:256
	global_load_dwordx4 v[26:29], v[38:39], off offset:1344
	;; [unrolled: 1-line block ×4, first 2 shown]
	v_addc_co_u32_e32 v63, vcc, 0, v55, vcc
	global_load_dwordx4 v[38:41], v[56:57], off offset:512
	global_load_dwordx4 v[42:45], v[56:57], off offset:1600
	;; [unrolled: 1-line block ×4, first 2 shown]
	s_nop 0
	global_load_dwordx4 v[54:57], v[62:63], off offset:768
	global_load_dwordx4 v[58:61], v[62:63], off offset:1856
	s_movk_i32 s4, 0x43
	v_cmp_eq_u32_e32 vcc, s4, v120
	v_add3_u32 v2, 0, v229, v2
	v_mov_b64_e32 v[230:231], v[120:121]
	s_waitcnt vmcnt(13)
	ds_write_b128 v2, v[4:7]
	s_waitcnt vmcnt(12)
	ds_write_b128 v2, v[8:11] offset:1088
	s_waitcnt vmcnt(11)
	ds_write_b128 v2, v[14:17] offset:2176
	;; [unrolled: 2-line block ×13, first 2 shown]
	s_and_saveexec_b64 s[4:5], vcc
	s_cbranch_execz .LBB0_13
; %bb.12:
	v_add_co_u32_e32 v0, vcc, 0x3000, v0
	v_mov_b32_e32 v120, 0x43
	s_nop 0
	v_addc_co_u32_e32 v1, vcc, 0, v1, vcc
	global_load_dwordx4 v[4:7], v[0:1], off offset:2944
	v_mov_b64_e32 v[230:231], 0x43
	s_waitcnt vmcnt(0)
	ds_write_b128 v2, v[4:7] offset:14160
.LBB0_13:
	s_or_b64 exec, exec, s[4:5]
.LBB0_14:
	s_or_b64 exec, exec, s[10:11]
	v_lshl_add_u32 v228, v12, 4, 0
	v_lshlrev_b32_e32 v0, 4, v120
	v_add_u32_e32 v226, v228, v0
	s_waitcnt lgkmcnt(0)
	s_barrier
	v_sub_u32_e32 v13, v228, v0
	ds_read_b64 v[4:5], v226
	ds_read_b64 v[6:7], v13 offset:15232
	s_add_u32 s4, s8, 0x3a70
	s_addc_u32 s5, s9, 0
	v_cmp_ne_u32_e32 vcc, 0, v120
	s_waitcnt lgkmcnt(0)
	v_add_f64 v[0:1], v[4:5], v[6:7]
	v_add_f64 v[2:3], v[4:5], -v[6:7]
	s_and_saveexec_b64 s[10:11], vcc
	s_xor_b64 s[10:11], exec, s[10:11]
	s_cbranch_execz .LBB0_16
; %bb.15:
	v_lshl_add_u64 v[0:1], v[230:231], 4, s[4:5]
	global_load_dwordx4 v[8:11], v[0:1], off
	ds_read_b64 v[0:1], v13 offset:15240
	ds_read_b64 v[2:3], v226 offset:8
	v_add_f64 v[14:15], v[4:5], v[6:7]
	v_add_f64 v[16:17], v[4:5], -v[6:7]
	s_waitcnt lgkmcnt(0)
	v_add_f64 v[18:19], v[0:1], v[2:3]
	v_add_f64 v[0:1], v[2:3], -v[0:1]
	s_waitcnt vmcnt(0)
	v_fma_f64 v[4:5], -v[16:17], v[10:11], v[14:15]
	v_fma_f64 v[6:7], v[18:19], v[10:11], -v[0:1]
	v_fma_f64 v[20:21], v[16:17], v[10:11], v[14:15]
	v_fma_f64 v[2:3], v[18:19], v[10:11], v[0:1]
	v_fmac_f64_e32 v[4:5], v[18:19], v[8:9]
	v_fmac_f64_e32 v[6:7], v[16:17], v[8:9]
	v_fma_f64 v[0:1], -v[18:19], v[8:9], v[20:21]
	v_fmac_f64_e32 v[2:3], v[16:17], v[8:9]
	ds_write_b128 v13, v[4:7] offset:15232
.LBB0_16:
	s_andn2_saveexec_b64 s[10:11], s[10:11]
	s_cbranch_execz .LBB0_18
; %bb.17:
	ds_read_b128 v[4:7], v228 offset:7616
	s_waitcnt lgkmcnt(0)
	v_add_f64 v[4:5], v[4:5], v[4:5]
	v_mul_f64 v[6:7], v[6:7], -2.0
	ds_write_b128 v228, v[4:7] offset:7616
.LBB0_18:
	s_or_b64 exec, exec, s[10:11]
	v_mov_b32_e32 v121, 0
	v_lshl_add_u64 v[18:19], v[120:121], 4, s[4:5]
	global_load_dwordx4 v[8:11], v[18:19], off offset:1088
	global_load_dwordx4 v[4:7], v[18:19], off offset:2176
	;; [unrolled: 1-line block ×3, first 2 shown]
	s_movk_i32 s4, 0x1000
	v_add_co_u32_e32 v30, vcc, s4, v18
	ds_write_b128 v226, v[0:3]
	s_nop 0
	v_addc_co_u32_e32 v31, vcc, 0, v19, vcc
	global_load_dwordx4 v[18:21], v[30:31], off offset:256
	ds_read_b128 v[0:3], v226 offset:1088
	ds_read_b128 v[22:25], v13 offset:14144
	global_load_dwordx4 v[26:29], v[30:31], off offset:1344
	v_lshl_add_u32 v227, v120, 4, 0
	v_lshl_add_u32 v121, v12, 4, v227
	s_mov_b32 s10, 0x2a9d6da3
	s_waitcnt lgkmcnt(0)
	v_add_f64 v[32:33], v[0:1], v[22:23]
	v_add_f64 v[34:35], v[24:25], v[2:3]
	v_add_f64 v[36:37], v[0:1], -v[22:23]
	v_add_f64 v[0:1], v[2:3], -v[24:25]
	s_mov_b32 s4, 0x75d4884
	s_mov_b32 s11, 0xbfe58eea
	;; [unrolled: 1-line block ×47, first 2 shown]
	v_cmp_gt_u32_e32 vcc, 56, v120
	s_waitcnt vmcnt(4)
	v_fma_f64 v[38:39], v[36:37], v[10:11], v[32:33]
	v_fma_f64 v[2:3], v[34:35], v[10:11], v[0:1]
	v_fma_f64 v[22:23], -v[36:37], v[10:11], v[32:33]
	v_fma_f64 v[24:25], v[34:35], v[10:11], -v[0:1]
	v_fma_f64 v[0:1], -v[34:35], v[8:9], v[38:39]
	v_fmac_f64_e32 v[2:3], v[36:37], v[8:9]
	v_fmac_f64_e32 v[22:23], v[34:35], v[8:9]
	;; [unrolled: 1-line block ×3, first 2 shown]
	ds_write_b128 v226, v[0:3] offset:1088
	ds_write_b128 v13, v[22:25] offset:14144
	ds_read_b128 v[8:11], v226 offset:2176
	ds_read_b128 v[22:25], v13 offset:13056
	global_load_dwordx4 v[0:3], v[30:31], off offset:2432
	s_waitcnt lgkmcnt(0)
	v_add_f64 v[30:31], v[8:9], v[22:23]
	v_add_f64 v[32:33], v[24:25], v[10:11]
	v_add_f64 v[34:35], v[8:9], -v[22:23]
	v_add_f64 v[10:11], v[10:11], -v[24:25]
	s_waitcnt vmcnt(4)
	v_fma_f64 v[36:37], v[34:35], v[6:7], v[30:31]
	v_fma_f64 v[8:9], v[32:33], v[6:7], v[10:11]
	v_fma_f64 v[22:23], -v[34:35], v[6:7], v[30:31]
	v_fma_f64 v[24:25], v[32:33], v[6:7], -v[10:11]
	v_fma_f64 v[6:7], -v[32:33], v[4:5], v[36:37]
	v_fmac_f64_e32 v[8:9], v[34:35], v[4:5]
	v_fmac_f64_e32 v[22:23], v[32:33], v[4:5]
	v_fmac_f64_e32 v[24:25], v[34:35], v[4:5]
	ds_write_b128 v226, v[6:9] offset:2176
	ds_write_b128 v13, v[22:25] offset:13056
	ds_read_b128 v[4:7], v226 offset:3264
	ds_read_b128 v[8:11], v13 offset:11968
	s_waitcnt lgkmcnt(0)
	v_add_f64 v[22:23], v[4:5], v[8:9]
	v_add_f64 v[24:25], v[10:11], v[6:7]
	v_add_f64 v[30:31], v[4:5], -v[8:9]
	v_add_f64 v[4:5], v[6:7], -v[10:11]
	s_waitcnt vmcnt(3)
	v_fma_f64 v[32:33], v[30:31], v[16:17], v[22:23]
	v_fma_f64 v[6:7], v[24:25], v[16:17], v[4:5]
	v_fma_f64 v[8:9], -v[30:31], v[16:17], v[22:23]
	v_fma_f64 v[10:11], v[24:25], v[16:17], -v[4:5]
	v_fma_f64 v[4:5], -v[24:25], v[14:15], v[32:33]
	v_fmac_f64_e32 v[6:7], v[30:31], v[14:15]
	v_fmac_f64_e32 v[8:9], v[24:25], v[14:15]
	v_fmac_f64_e32 v[10:11], v[30:31], v[14:15]
	ds_write_b128 v226, v[4:7] offset:3264
	ds_write_b128 v13, v[8:11] offset:11968
	ds_read_b128 v[4:7], v226 offset:4352
	ds_read_b128 v[8:11], v13 offset:10880
	;; [unrolled: 18-line block ×4, first 2 shown]
	s_waitcnt lgkmcnt(0)
	v_add_f64 v[14:15], v[4:5], v[8:9]
	v_add_f64 v[16:17], v[10:11], v[6:7]
	v_add_f64 v[18:19], v[4:5], -v[8:9]
	v_add_f64 v[8:9], v[6:7], -v[10:11]
	s_waitcnt vmcnt(0)
	v_fma_f64 v[10:11], v[18:19], v[2:3], v[14:15]
	v_fma_f64 v[4:5], v[16:17], v[2:3], v[8:9]
	v_fma_f64 v[6:7], -v[18:19], v[2:3], v[14:15]
	v_fma_f64 v[8:9], v[16:17], v[2:3], -v[8:9]
	v_fma_f64 v[2:3], -v[16:17], v[0:1], v[10:11]
	v_fmac_f64_e32 v[4:5], v[18:19], v[0:1]
	v_fmac_f64_e32 v[6:7], v[16:17], v[0:1]
	;; [unrolled: 1-line block ×3, first 2 shown]
	ds_write_b128 v226, v[2:5] offset:6528
	ds_write_b128 v13, v[6:9] offset:8704
	s_waitcnt lgkmcnt(0)
	s_barrier
	s_barrier
	ds_read_b128 v[28:31], v226
	ds_read_b128 v[32:35], v121 offset:896
	ds_read_b128 v[16:19], v121 offset:14336
	ds_read_b128 v[36:39], v121 offset:1792
	ds_read_b128 v[40:43], v121 offset:2688
	ds_read_b128 v[20:23], v121 offset:12544
	ds_read_b128 v[24:27], v121 offset:13440
	s_waitcnt lgkmcnt(4)
	v_add_f64 v[128:129], v[34:35], -v[18:19]
	v_add_f64 v[124:125], v[32:33], v[16:17]
	v_add_f64 v[126:127], v[32:33], -v[16:17]
	v_mul_f64 v[98:99], v[128:129], s[10:11]
	s_waitcnt lgkmcnt(0)
	v_add_f64 v[138:139], v[38:39], -v[26:27]
	v_add_f64 v[132:133], v[34:35], v[18:19]
	v_mul_f64 v[100:101], v[126:127], s[10:11]
	v_fma_f64 v[0:1], s[4:5], v[124:125], v[98:99]
	v_add_f64 v[130:131], v[36:37], v[24:25]
	v_add_f64 v[134:135], v[36:37], -v[24:25]
	v_mul_f64 v[102:103], v[138:139], s[14:15]
	ds_read_b128 v[44:47], v121 offset:11648
	ds_read_b128 v[48:51], v121 offset:3584
	v_fma_f64 v[2:3], v[132:133], s[4:5], -v[100:101]
	v_add_f64 v[0:1], v[28:29], v[0:1]
	v_add_f64 v[144:145], v[38:39], v[26:27]
	v_mul_f64 v[104:105], v[134:135], s[14:15]
	v_fma_f64 v[4:5], s[12:13], v[130:131], v[102:103]
	v_add_f64 v[150:151], v[42:43], -v[22:23]
	v_add_f64 v[2:3], v[30:31], v[2:3]
	v_add_f64 v[0:1], v[4:5], v[0:1]
	v_fma_f64 v[4:5], v[144:145], s[12:13], -v[104:105]
	v_add_f64 v[142:143], v[40:41], v[20:21]
	v_mul_f64 v[106:107], v[150:151], s[18:19]
	ds_read_b128 v[52:55], v121 offset:4480
	ds_read_b128 v[56:59], v121 offset:10752
	v_add_f64 v[2:3], v[4:5], v[2:3]
	v_fma_f64 v[4:5], s[16:17], v[142:143], v[106:107]
	v_add_f64 v[146:147], v[40:41], -v[20:21]
	v_add_f64 v[0:1], v[4:5], v[0:1]
	v_mul_f64 v[4:5], v[146:147], s[18:19]
	ds_read_b128 v[60:63], v121 offset:9856
	ds_read_b128 v[64:67], v121 offset:5376
	v_add_f64 v[156:157], v[42:43], v[22:23]
	v_accvgpr_write_b32 a19, v5
	s_waitcnt lgkmcnt(4)
	v_add_f64 v[164:165], v[50:51], -v[46:47]
	v_accvgpr_write_b32 a18, v4
	v_fma_f64 v[4:5], v[156:157], s[16:17], -v[4:5]
	v_add_f64 v[154:155], v[48:49], v[44:45]
	v_mul_f64 v[232:233], v[164:165], s[22:23]
	v_add_f64 v[158:159], v[48:49], -v[44:45]
	ds_read_b128 v[68:71], v121 offset:6272
	ds_read_b128 v[72:75], v121 offset:8960
	v_add_f64 v[2:3], v[4:5], v[2:3]
	v_fma_f64 v[4:5], s[20:21], v[154:155], v[232:233]
	v_add_f64 v[170:171], v[50:51], v[46:47]
	v_mul_f64 v[234:235], v[158:159], s[22:23]
	s_waitcnt lgkmcnt(4)
	v_add_f64 v[172:173], v[54:55], -v[58:59]
	v_add_f64 v[0:1], v[4:5], v[0:1]
	v_fma_f64 v[4:5], v[170:171], s[20:21], -v[234:235]
	v_add_f64 v[162:163], v[52:53], v[56:57]
	v_mul_f64 v[236:237], v[172:173], s[30:31]
	v_add_f64 v[168:169], v[52:53], -v[56:57]
	ds_read_b128 v[76:79], v121 offset:7168
	ds_read_b128 v[80:83], v121 offset:8064
	v_add_f64 v[2:3], v[4:5], v[2:3]
	v_fma_f64 v[4:5], s[24:25], v[162:163], v[236:237]
	v_add_f64 v[178:179], v[54:55], v[58:59]
	v_mul_f64 v[238:239], v[168:169], s[30:31]
	s_waitcnt lgkmcnt(4)
	v_add_f64 v[192:193], v[66:67], -v[62:63]
	v_add_f64 v[0:1], v[4:5], v[0:1]
	v_fma_f64 v[4:5], v[178:179], s[24:25], -v[238:239]
	v_add_f64 v[180:181], v[64:65], v[60:61]
	v_mul_f64 v[240:241], v[192:193], s[34:35]
	v_add_f64 v[188:189], v[64:65], -v[60:61]
	v_add_f64 v[2:3], v[4:5], v[2:3]
	v_fma_f64 v[4:5], s[26:27], v[180:181], v[240:241]
	v_add_f64 v[198:199], v[66:67], v[62:63]
	v_mul_f64 v[244:245], v[188:189], s[34:35]
	s_waitcnt lgkmcnt(2)
	v_add_f64 v[196:197], v[70:71], -v[74:75]
	v_add_f64 v[0:1], v[4:5], v[0:1]
	v_fma_f64 v[4:5], v[198:199], s[26:27], -v[244:245]
	v_add_f64 v[184:185], v[68:69], v[72:73]
	v_mul_f64 v[242:243], v[196:197], s[44:45]
	v_add_f64 v[190:191], v[68:69], -v[72:73]
	;; [unrolled: 11-line block ×3, first 2 shown]
	v_add_f64 v[2:3], v[4:5], v[2:3]
	v_fma_f64 v[4:5], s[40:41], v[194:195], v[248:249]
	v_add_f64 v[214:215], v[78:79], v[82:83]
	v_mul_f64 v[250:251], v[200:201], s[46:47]
	v_add_f64 v[0:1], v[4:5], v[0:1]
	v_fma_f64 v[4:5], v[214:215], s[40:41], -v[250:251]
	v_add_f64 v[2:3], v[4:5], v[2:3]
	v_mul_f64 v[4:5], v[128:129], s[38:39]
	v_accvgpr_write_b32 a4, v4
	v_mul_f64 v[6:7], v[138:139], s[18:19]
	v_accvgpr_write_b32 a5, v5
	v_fma_f64 v[4:5], s[36:37], v[124:125], v[4:5]
	v_accvgpr_write_b32 a6, v6
	v_add_f64 v[4:5], v[28:29], v[4:5]
	v_accvgpr_write_b32 a7, v7
	v_fma_f64 v[6:7], s[16:17], v[130:131], v[6:7]
	v_mul_f64 v[114:115], v[126:127], s[38:39]
	v_mul_f64 v[8:9], v[134:135], s[18:19]
	v_add_f64 v[4:5], v[6:7], v[4:5]
	v_fma_f64 v[6:7], v[132:133], s[36:37], -v[114:115]
	v_accvgpr_write_b32 a21, v9
	v_add_f64 v[6:7], v[30:31], v[6:7]
	v_accvgpr_write_b32 a20, v8
	v_fma_f64 v[8:9], v[144:145], s[16:17], -v[8:9]
	v_add_f64 v[6:7], v[8:9], v[6:7]
	v_mul_f64 v[8:9], v[150:151], s[52:53]
	v_accvgpr_write_b32 a8, v8
	v_accvgpr_write_b32 a9, v9
	v_fma_f64 v[8:9], s[20:21], v[142:143], v[8:9]
	v_add_f64 v[4:5], v[8:9], v[4:5]
	v_mul_f64 v[8:9], v[146:147], s[52:53]
	v_accvgpr_write_b32 a25, v9
	v_accvgpr_write_b32 a24, v8
	v_fma_f64 v[8:9], v[156:157], s[20:21], -v[8:9]
	v_add_f64 v[6:7], v[8:9], v[6:7]
	v_mul_f64 v[8:9], v[164:165], s[34:35]
	v_accvgpr_write_b32 a11, v9
	v_accvgpr_write_b32 a10, v8
	v_fma_f64 v[8:9], s[26:27], v[154:155], v[8:9]
	v_add_f64 v[4:5], v[8:9], v[4:5]
	v_mul_f64 v[8:9], v[158:159], s[34:35]
	v_accvgpr_write_b32 a29, v9
	v_accvgpr_write_b32 a28, v8
	v_fma_f64 v[8:9], v[170:171], s[26:27], -v[8:9]
	v_add_f64 v[6:7], v[8:9], v[6:7]
	v_mul_f64 v[8:9], v[172:173], s[54:55]
	v_accvgpr_write_b32 a13, v9
	v_accvgpr_write_b32 a12, v8
	v_fma_f64 v[8:9], s[4:5], v[162:163], v[8:9]
	v_add_f64 v[4:5], v[8:9], v[4:5]
	v_mul_f64 v[8:9], v[168:169], s[54:55]
	v_accvgpr_write_b32 a31, v9
	v_accvgpr_write_b32 a30, v8
	v_fma_f64 v[8:9], v[178:179], s[4:5], -v[8:9]
	v_mul_f64 v[112:113], v[192:193], s[48:49]
	v_add_f64 v[6:7], v[8:9], v[6:7]
	v_fma_f64 v[8:9], s[40:41], v[180:181], v[112:113]
	v_add_f64 v[4:5], v[8:9], v[4:5]
	v_mul_f64 v[8:9], v[188:189], s[48:49]
	v_accvgpr_write_b32 a33, v9
	v_accvgpr_write_b32 a32, v8
	v_fma_f64 v[8:9], v[198:199], s[40:41], -v[8:9]
	v_add_f64 v[6:7], v[8:9], v[6:7]
	v_mul_f64 v[8:9], v[196:197], s[14:15]
	v_accvgpr_write_b32 a23, v9
	v_accvgpr_write_b32 a22, v8
	v_fma_f64 v[8:9], s[12:13], v[184:185], v[8:9]
	v_add_f64 v[4:5], v[8:9], v[4:5]
	v_mul_f64 v[8:9], v[190:191], s[14:15]
	v_accvgpr_write_b32 a35, v9
	v_accvgpr_write_b32 a34, v8
	v_fma_f64 v[8:9], v[204:205], s[12:13], -v[8:9]
	v_add_f64 v[6:7], v[8:9], v[6:7]
	v_mul_f64 v[8:9], v[208:209], s[50:51]
	v_accvgpr_write_b32 a27, v9
	v_accvgpr_write_b32 a26, v8
	v_fma_f64 v[8:9], s[24:25], v[194:195], v[8:9]
	v_add_f64 v[4:5], v[8:9], v[4:5]
	v_mul_f64 v[8:9], v[200:201], s[50:51]
	v_accvgpr_write_b32 a41, v9
	v_accvgpr_write_b32 a40, v8
	v_fma_f64 v[8:9], v[214:215], s[24:25], -v[8:9]
	v_add_f64 v[6:7], v[8:9], v[6:7]
	v_mul_f64 v[8:9], v[128:129], s[14:15]
	v_accvgpr_write_b32 a43, v9
	v_mul_f64 v[10:11], v[138:139], s[22:23]
	v_accvgpr_write_b32 a42, v8
	v_fma_f64 v[8:9], s[12:13], v[124:125], v[8:9]
	v_accvgpr_write_b32 a45, v11
	v_add_f64 v[8:9], v[28:29], v[8:9]
	v_accvgpr_write_b32 a44, v10
	v_fma_f64 v[10:11], s[20:21], v[130:131], v[10:11]
	v_mul_f64 v[122:123], v[126:127], s[14:15]
	v_add_f64 v[8:9], v[10:11], v[8:9]
	v_fma_f64 v[10:11], v[132:133], s[12:13], -v[122:123]
	v_mul_f64 v[140:141], v[134:135], s[22:23]
	v_add_f64 v[10:11], v[30:31], v[10:11]
	v_fma_f64 v[12:13], v[144:145], s[20:21], -v[140:141]
	v_mul_f64 v[252:253], v[150:151], s[34:35]
	v_add_f64 v[10:11], v[12:13], v[10:11]
	v_fma_f64 v[12:13], s[26:27], v[142:143], v[252:253]
	v_mul_f64 v[152:153], v[146:147], s[34:35]
	v_add_f64 v[8:9], v[12:13], v[8:9]
	v_fma_f64 v[12:13], v[156:157], s[26:27], -v[152:153]
	v_mul_f64 v[254:255], v[164:165], s[46:47]
	v_add_f64 v[10:11], v[12:13], v[10:11]
	v_fma_f64 v[12:13], s[40:41], v[154:155], v[254:255]
	;; [unrolled: 6-line block ×7, first 2 shown]
	v_mul_f64 v[108:109], v[138:139], s[30:31]
	v_add_f64 v[12:13], v[28:29], v[12:13]
	v_fma_f64 v[14:15], s[24:25], v[130:131], v[108:109]
	v_mul_f64 v[206:207], v[126:127], s[28:29]
	v_add_f64 v[12:13], v[14:15], v[12:13]
	v_fma_f64 v[14:15], v[132:133], s[26:27], -v[206:207]
	v_mul_f64 v[212:213], v[134:135], s[30:31]
	v_add_f64 v[14:15], v[30:31], v[14:15]
	v_fma_f64 v[88:89], v[144:145], s[24:25], -v[212:213]
	v_mul_f64 v[110:111], v[150:151], s[54:55]
	v_add_f64 v[14:15], v[88:89], v[14:15]
	v_fma_f64 v[88:89], s[4:5], v[142:143], v[110:111]
	v_mul_f64 v[90:91], v[146:147], s[54:55]
	v_add_f64 v[12:13], v[88:89], v[12:13]
	v_fma_f64 v[88:89], v[156:157], s[4:5], -v[90:91]
	v_mul_f64 v[202:203], v[164:165], s[38:39]
	v_add_f64 v[14:15], v[88:89], v[14:15]
	v_fma_f64 v[88:89], s[36:37], v[154:155], v[202:203]
	v_mul_f64 v[218:219], v[158:159], s[38:39]
	v_add_f64 v[12:13], v[88:89], v[12:13]
	v_fma_f64 v[88:89], v[170:171], s[36:37], -v[218:219]
	v_mul_f64 v[210:211], v[172:173], s[22:23]
	v_add_f64 v[14:15], v[88:89], v[14:15]
	v_fma_f64 v[88:89], s[20:21], v[162:163], v[210:211]
	v_mul_f64 v[222:223], v[168:169], s[22:23]
	v_add_f64 v[12:13], v[88:89], v[12:13]
	v_fma_f64 v[88:89], v[178:179], s[20:21], -v[222:223]
	v_add_f64 v[14:15], v[88:89], v[14:15]
	v_mul_f64 v[88:89], v[192:193], s[58:59]
	v_fma_f64 v[92:93], s[12:13], v[180:181], v[88:89]
	v_add_f64 v[12:13], v[92:93], v[12:13]
	v_mul_f64 v[92:93], v[188:189], s[58:59]
	v_fma_f64 v[94:95], v[198:199], s[12:13], -v[92:93]
	v_mul_f64 v[216:217], v[196:197], s[48:49]
	v_add_f64 v[14:15], v[94:95], v[14:15]
	v_fma_f64 v[94:95], s[40:41], v[184:185], v[216:217]
	v_add_f64 v[12:13], v[94:95], v[12:13]
	v_mul_f64 v[94:95], v[190:191], s[48:49]
	v_fma_f64 v[96:97], v[204:205], s[40:41], -v[94:95]
	v_mul_f64 v[220:221], v[208:209], s[18:19]
	v_add_f64 v[14:15], v[96:97], v[14:15]
	v_fma_f64 v[96:97], s[16:17], v[194:195], v[220:221]
	v_mul_f64 v[224:225], v[200:201], s[18:19]
	v_add_f64 v[12:13], v[96:97], v[12:13]
	v_fma_f64 v[96:97], v[214:215], s[16:17], -v[224:225]
	v_add_f64 v[14:15], v[96:97], v[14:15]
	s_barrier
	s_and_saveexec_b64 s[42:43], vcc
	s_cbranch_execz .LBB0_20
; %bb.19:
	v_mul_f64 v[96:97], v[132:133], s[20:21]
	v_accvgpr_write_b32 a50, v98
	v_accvgpr_write_b32 a56, v100
	;; [unrolled: 1-line block ×3, first 2 shown]
	v_fma_f64 v[98:99], s[52:53], v[126:127], v[96:97]
	v_accvgpr_write_b32 a57, v101
	v_mul_f64 v[100:101], v[144:145], s[40:41]
	v_accvgpr_write_b32 a52, v102
	v_add_f64 v[98:99], v[30:31], v[98:99]
	v_accvgpr_write_b32 a53, v103
	v_fma_f64 v[102:103], s[48:49], v[134:135], v[100:101]
	v_add_f64 v[98:99], v[102:103], v[98:99]
	v_mul_f64 v[102:103], v[156:157], s[24:25]
	v_accvgpr_write_b32 a60, v104
	v_accvgpr_write_b32 a61, v105
	v_fma_f64 v[104:105], s[30:31], v[146:147], v[102:103]
	v_add_f64 v[98:99], v[104:105], v[98:99]
	v_mul_f64 v[104:105], v[170:171], s[4:5]
	v_accvgpr_write_b32 a54, v106
	;; [unrolled: 5-line block ×6, first 2 shown]
	v_accvgpr_write_b32 a62, v236
	v_accvgpr_write_b32 a69, v235
	v_fma_f64 v[234:235], s[20:21], v[124:125], v[232:233]
	v_accvgpr_write_b32 a63, v237
	v_mul_f64 v[236:237], v[138:139], s[46:47]
	v_accvgpr_write_b32 a70, v238
	v_add_f64 v[234:235], v[28:29], v[234:235]
	v_accvgpr_write_b32 a71, v239
	v_fma_f64 v[238:239], s[40:41], v[130:131], v[236:237]
	v_add_f64 v[234:235], v[238:239], v[234:235]
	v_mul_f64 v[238:239], v[150:151], s[50:51]
	v_accvgpr_write_b32 a64, v240
	v_accvgpr_write_b32 a65, v241
	v_fma_f64 v[240:241], s[24:25], v[142:143], v[238:239]
	v_add_f64 v[234:235], v[240:241], v[234:235]
	v_mul_f64 v[240:241], v[164:165], s[54:55]
	v_accvgpr_write_b32 a66, v242
	v_accvgpr_write_b32 a67, v243
	v_fma_f64 v[242:243], s[4:5], v[154:155], v[240:241]
	v_fmac_f64_e32 v[96:97], s[22:23], v[126:127]
	v_add_f64 v[234:235], v[242:243], v[234:235]
	v_mul_f64 v[242:243], v[172:173], s[18:19]
	v_accvgpr_write_b32 a78, v244
	v_fmac_f64_e32 v[100:101], s[46:47], v[134:135]
	v_add_f64 v[96:97], v[30:31], v[96:97]
	v_accvgpr_write_b32 a79, v245
	v_fma_f64 v[244:245], s[16:17], v[162:163], v[242:243]
	v_add_f64 v[96:97], v[100:101], v[96:97]
	v_fmac_f64_e32 v[102:103], s[50:51], v[146:147]
	v_add_f64 v[234:235], v[244:245], v[234:235]
	v_mul_f64 v[244:245], v[192:193], s[44:45]
	v_accvgpr_write_b32 a80, v246
	v_add_f64 v[96:97], v[102:103], v[96:97]
	v_fma_f64 v[102:103], v[124:125], s[20:21], -v[232:233]
	v_accvgpr_write_b32 a81, v247
	v_fma_f64 v[246:247], s[36:37], v[180:181], v[244:245]
	v_fma_f64 v[100:101], v[130:131], s[40:41], -v[236:237]
	v_add_f64 v[102:103], v[28:29], v[102:103]
	v_add_f64 v[234:235], v[246:247], v[234:235]
	v_mul_f64 v[246:247], v[196:197], s[28:29]
	v_accvgpr_write_b32 a72, v248
	v_fmac_f64_e32 v[104:105], s[54:55], v[158:159]
	v_add_f64 v[100:101], v[100:101], v[102:103]
	v_fma_f64 v[102:103], v[142:143], s[24:25], -v[238:239]
	v_accvgpr_write_b32 a73, v249
	v_fma_f64 v[248:249], s[26:27], v[184:185], v[246:247]
	v_add_f64 v[96:97], v[104:105], v[96:97]
	v_fmac_f64_e32 v[106:107], s[18:19], v[168:169]
	v_add_f64 v[100:101], v[102:103], v[100:101]
	v_fma_f64 v[102:103], v[154:155], s[4:5], -v[240:241]
	v_add_f64 v[234:235], v[248:249], v[234:235]
	v_mul_f64 v[248:249], v[214:215], s[12:13]
	v_accvgpr_write_b32 a82, v250
	v_add_f64 v[96:97], v[106:107], v[96:97]
	v_fmac_f64_e32 v[228:229], s[44:45], v[188:189]
	v_add_f64 v[100:101], v[102:103], v[100:101]
	v_fma_f64 v[102:103], v[162:163], s[16:17], -v[242:243]
	v_accvgpr_write_b32 a83, v251
	v_fma_f64 v[250:251], s[14:15], v[200:201], v[248:249]
	v_accvgpr_write_b32 a86, v114
	v_add_f64 v[96:97], v[228:229], v[96:97]
	v_fmac_f64_e32 v[230:231], s[28:29], v[190:191]
	v_add_f64 v[100:101], v[102:103], v[100:101]
	v_fma_f64 v[102:103], v[180:181], s[36:37], -v[244:245]
	v_accvgpr_write_b32 a87, v115
	v_add_f64 v[114:115], v[250:251], v[98:99]
	v_mul_f64 v[98:99], v[208:209], s[58:59]
	v_add_f64 v[96:97], v[230:231], v[96:97]
	v_add_f64 v[100:101], v[102:103], v[100:101]
	v_fma_f64 v[102:103], v[184:185], s[26:27], -v[246:247]
	v_fmac_f64_e32 v[248:249], s[58:59], v[200:201]
	v_add_f64 v[100:101], v[102:103], v[100:101]
	v_add_f64 v[102:103], v[248:249], v[96:97]
	v_fma_f64 v[96:97], v[194:195], s[12:13], -v[98:99]
	v_add_f64 v[100:101], v[96:97], v[100:101]
	v_accvgpr_write_b32 a36, v100
	v_mul_f64 v[96:97], v[132:133], s[24:25]
	v_fma_f64 v[250:251], s[12:13], v[194:195], v[98:99]
	v_accvgpr_write_b32 a37, v101
	v_accvgpr_write_b32 a38, v102
	;; [unrolled: 1-line block ×3, first 2 shown]
	v_fma_f64 v[98:99], s[30:31], v[126:127], v[96:97]
	v_mul_f64 v[100:101], v[144:145], s[36:37]
	v_add_f64 v[98:99], v[30:31], v[98:99]
	v_fma_f64 v[102:103], s[38:39], v[134:135], v[100:101]
	v_add_f64 v[98:99], v[102:103], v[98:99]
	v_mul_f64 v[102:103], v[156:157], s[12:13]
	v_fma_f64 v[104:105], s[58:59], v[146:147], v[102:103]
	v_add_f64 v[98:99], v[104:105], v[98:99]
	v_mul_f64 v[104:105], v[170:171], s[16:17]
	;; [unrolled: 3-line block ×5, first 2 shown]
	v_fma_f64 v[232:233], s[10:11], v[190:191], v[230:231]
	v_accvgpr_write_b32 a84, v112
	v_add_f64 v[98:99], v[232:233], v[98:99]
	v_mul_f64 v[232:233], v[128:129], s[50:51]
	v_accvgpr_write_b32 a85, v113
	v_add_f64 v[112:113], v[250:251], v[234:235]
	v_fma_f64 v[234:235], s[24:25], v[124:125], v[232:233]
	v_mul_f64 v[236:237], v[138:139], s[44:45]
	v_add_f64 v[234:235], v[28:29], v[234:235]
	v_fma_f64 v[238:239], s[36:37], v[130:131], v[236:237]
	v_add_f64 v[234:235], v[238:239], v[234:235]
	v_mul_f64 v[238:239], v[150:151], s[14:15]
	v_fma_f64 v[240:241], s[12:13], v[142:143], v[238:239]
	v_add_f64 v[234:235], v[240:241], v[234:235]
	v_mul_f64 v[240:241], v[164:165], s[56:57]
	;; [unrolled: 3-line block ×6, first 2 shown]
	v_accvgpr_write_b32 a14, v112
	v_fma_f64 v[250:251], s[34:35], v[200:201], v[248:249]
	v_fmac_f64_e32 v[96:97], s[50:51], v[126:127]
	v_accvgpr_write_b32 a15, v113
	v_accvgpr_write_b32 a16, v114
	v_accvgpr_write_b32 a17, v115
	v_add_f64 v[114:115], v[250:251], v[98:99]
	v_mul_f64 v[250:251], v[208:209], s[28:29]
	v_fmac_f64_e32 v[100:101], s[44:45], v[134:135]
	v_add_f64 v[96:97], v[30:31], v[96:97]
	v_fma_f64 v[98:99], s[26:27], v[194:195], v[250:251]
	v_add_f64 v[96:97], v[100:101], v[96:97]
	v_fma_f64 v[100:101], v[124:125], s[24:25], -v[232:233]
	v_add_f64 v[112:113], v[98:99], v[234:235]
	v_fmac_f64_e32 v[102:103], s[14:15], v[146:147]
	v_fma_f64 v[98:99], v[130:131], s[36:37], -v[236:237]
	v_add_f64 v[100:101], v[28:29], v[100:101]
	v_add_f64 v[96:97], v[102:103], v[96:97]
	v_fmac_f64_e32 v[104:105], s[56:57], v[158:159]
	v_add_f64 v[98:99], v[98:99], v[100:101]
	v_fma_f64 v[100:101], v[142:143], s[12:13], -v[238:239]
	v_add_f64 v[96:97], v[104:105], v[96:97]
	v_fmac_f64_e32 v[106:107], s[48:49], v[168:169]
	v_add_f64 v[98:99], v[100:101], v[98:99]
	v_fma_f64 v[100:101], v[154:155], s[16:17], -v[240:241]
	v_add_f64 v[96:97], v[106:107], v[96:97]
	v_fmac_f64_e32 v[228:229], s[22:23], v[188:189]
	v_add_f64 v[98:99], v[100:101], v[98:99]
	v_fma_f64 v[100:101], v[162:163], s[40:41], -v[242:243]
	v_add_f64 v[96:97], v[228:229], v[96:97]
	v_fmac_f64_e32 v[230:231], s[54:55], v[190:191]
	v_add_f64 v[98:99], v[100:101], v[98:99]
	v_fma_f64 v[100:101], v[180:181], s[20:21], -v[244:245]
	v_add_f64 v[96:97], v[230:231], v[96:97]
	v_add_f64 v[98:99], v[100:101], v[98:99]
	v_fma_f64 v[100:101], v[184:185], s[4:5], -v[246:247]
	v_fmac_f64_e32 v[248:249], s[28:29], v[200:201]
	v_add_f64 v[100:101], v[100:101], v[98:99]
	v_add_f64 v[98:99], v[248:249], v[96:97]
	v_fma_f64 v[96:97], v[194:195], s[26:27], -v[250:251]
	v_mul_f64 v[104:105], v[132:133], s[16:17]
	v_add_f64 v[96:97], v[96:97], v[100:101]
	v_fma_f64 v[100:101], s[56:57], v[126:127], v[104:105]
	v_mul_f64 v[106:107], v[144:145], s[26:27]
	v_add_f64 v[100:101], v[30:31], v[100:101]
	v_fma_f64 v[102:103], s[28:29], v[134:135], v[106:107]
	;; [unrolled: 3-line block ×9, first 2 shown]
	v_add_f64 v[102:103], v[242:243], v[102:103]
	v_mul_f64 v[242:243], v[150:151], s[48:49]
	v_fma_f64 v[244:245], s[40:41], v[142:143], v[242:243]
	v_add_f64 v[102:103], v[244:245], v[102:103]
	v_mul_f64 v[244:245], v[164:165], s[50:51]
	v_fma_f64 v[246:247], s[24:25], v[154:155], v[244:245]
	;; [unrolled: 3-line block ×4, first 2 shown]
	v_accvgpr_write_b32 a74, v96
	v_add_f64 v[102:103], v[250:251], v[102:103]
	v_mul_f64 v[250:251], v[196:197], s[22:23]
	v_accvgpr_write_b32 a46, v112
	v_accvgpr_write_b32 a75, v97
	;; [unrolled: 1-line block ×4, first 2 shown]
	v_fma_f64 v[96:97], s[20:21], v[184:185], v[250:251]
	v_mul_f64 v[98:99], v[214:215], s[36:37]
	v_accvgpr_write_b32 a47, v113
	v_accvgpr_write_b32 a48, v114
	;; [unrolled: 1-line block ×3, first 2 shown]
	v_add_f64 v[96:97], v[96:97], v[102:103]
	v_fma_f64 v[102:103], s[38:39], v[200:201], v[98:99]
	v_mul_f64 v[112:113], v[208:209], s[44:45]
	v_add_f64 v[102:103], v[102:103], v[100:101]
	v_fma_f64 v[100:101], s[36:37], v[194:195], v[112:113]
	v_fmac_f64_e32 v[104:105], s[18:19], v[126:127]
	v_add_f64 v[100:101], v[100:101], v[96:97]
	v_fmac_f64_e32 v[106:107], s[34:35], v[134:135]
	v_add_f64 v[96:97], v[30:31], v[104:105]
	v_add_f64 v[96:97], v[106:107], v[96:97]
	v_fma_f64 v[106:107], v[124:125], s[16:17], -v[238:239]
	v_fmac_f64_e32 v[228:229], s[48:49], v[146:147]
	v_fma_f64 v[104:105], v[130:131], s[26:27], -v[240:241]
	v_add_f64 v[106:107], v[28:29], v[106:107]
	v_add_f64 v[96:97], v[228:229], v[96:97]
	v_fmac_f64_e32 v[230:231], s[50:51], v[158:159]
	v_add_f64 v[104:105], v[104:105], v[106:107]
	v_fma_f64 v[106:107], v[142:143], s[40:41], -v[242:243]
	v_add_f64 v[96:97], v[230:231], v[96:97]
	v_fmac_f64_e32 v[232:233], s[58:59], v[168:169]
	v_add_f64 v[104:105], v[106:107], v[104:105]
	v_fma_f64 v[106:107], v[154:155], s[24:25], -v[244:245]
	;; [unrolled: 4-line block ×4, first 2 shown]
	v_add_f64 v[96:97], v[236:237], v[96:97]
	v_add_f64 v[104:105], v[106:107], v[104:105]
	v_fma_f64 v[106:107], v[184:185], s[20:21], -v[250:251]
	v_fmac_f64_e32 v[98:99], s[44:45], v[200:201]
	v_add_f64 v[104:105], v[106:107], v[104:105]
	v_add_f64 v[106:107], v[98:99], v[96:97]
	v_fma_f64 v[96:97], v[194:195], s[36:37], -v[112:113]
	v_mul_f64 v[112:113], v[170:171], s[36:37]
	v_add_f64 v[112:113], v[218:219], v[112:113]
	v_mul_f64 v[218:219], v[156:157], s[4:5]
	v_add_f64 v[90:91], v[90:91], v[218:219]
	;; [unrolled: 2-line block ×4, first 2 shown]
	v_add_f64 v[206:207], v[30:31], v[206:207]
	v_add_f64 v[206:207], v[212:213], v[206:207]
	;; [unrolled: 1-line block ×4, first 2 shown]
	v_mul_f64 v[112:113], v[154:155], s[36:37]
	v_add_f64 v[112:113], v[112:113], -v[202:203]
	v_mul_f64 v[202:203], v[142:143], s[4:5]
	v_mul_f64 v[98:99], v[204:205], s[40:41]
	v_add_f64 v[110:111], v[202:203], -v[110:111]
	v_mul_f64 v[202:203], v[130:131], s[24:25]
	v_add_f64 v[94:95], v[94:95], v[98:99]
	v_mul_f64 v[98:99], v[198:199], s[12:13]
	v_add_f64 v[108:109], v[202:203], -v[108:109]
	v_mul_f64 v[202:203], v[124:125], s[26:27]
	v_add_f64 v[92:93], v[92:93], v[98:99]
	v_mul_f64 v[98:99], v[178:179], s[20:21]
	v_add_f64 v[86:87], v[202:203], -v[86:87]
	v_add_f64 v[98:99], v[222:223], v[98:99]
	v_add_f64 v[86:87], v[28:29], v[86:87]
	;; [unrolled: 1-line block ×3, first 2 shown]
	v_mul_f64 v[98:99], v[180:181], s[12:13]
	v_add_f64 v[86:87], v[108:109], v[86:87]
	v_add_f64 v[88:89], v[98:99], -v[88:89]
	v_mul_f64 v[98:99], v[162:163], s[20:21]
	v_add_f64 v[86:87], v[110:111], v[86:87]
	v_add_f64 v[98:99], v[98:99], -v[210:211]
	v_add_f64 v[86:87], v[112:113], v[86:87]
	v_add_f64 v[104:105], v[96:97], v[104:105]
	v_mul_f64 v[96:97], v[214:215], s[16:17]
	v_add_f64 v[90:91], v[92:93], v[90:91]
	v_add_f64 v[86:87], v[98:99], v[86:87]
	v_mul_f64 v[98:99], v[132:133], s[12:13]
	v_accvgpr_read_b32 v115, a45
	v_add_f64 v[96:97], v[224:225], v[96:97]
	v_add_f64 v[90:91], v[94:95], v[90:91]
	v_mul_f64 v[94:95], v[184:185], s[40:41]
	v_add_f64 v[98:99], v[122:123], v[98:99]
	v_mul_f64 v[112:113], v[130:131], s[20:21]
	v_accvgpr_read_b32 v114, a44
	v_accvgpr_read_b32 v123, a43
	v_mul_f64 v[92:93], v[194:195], s[16:17]
	v_add_f64 v[94:95], v[94:95], -v[216:217]
	v_add_f64 v[86:87], v[88:89], v[86:87]
	v_add_f64 v[110:111], v[96:97], v[90:91]
	v_mul_f64 v[96:97], v[144:145], s[20:21]
	v_add_f64 v[112:113], v[112:113], -v[114:115]
	v_mul_f64 v[114:115], v[124:125], s[12:13]
	v_accvgpr_read_b32 v122, a42
	v_add_f64 v[92:93], v[92:93], -v[220:221]
	v_add_f64 v[86:87], v[94:95], v[86:87]
	v_mul_f64 v[94:95], v[156:157], s[26:27]
	v_add_f64 v[96:97], v[140:141], v[96:97]
	v_add_f64 v[98:99], v[30:31], v[98:99]
	v_add_f64 v[114:115], v[114:115], -v[122:123]
	v_add_f64 v[108:109], v[92:93], v[86:87]
	v_mul_f64 v[92:93], v[170:171], s[40:41]
	v_add_f64 v[94:95], v[152:153], v[94:95]
	v_add_f64 v[96:97], v[96:97], v[98:99]
	v_mul_f64 v[98:99], v[142:143], s[26:27]
	v_add_f64 v[114:115], v[28:29], v[114:115]
	v_mul_f64 v[90:91], v[178:179], s[36:37]
	v_add_f64 v[92:93], v[166:167], v[92:93]
	v_add_f64 v[94:95], v[94:95], v[96:97]
	v_mul_f64 v[96:97], v[154:155], s[40:41]
	v_add_f64 v[98:99], v[98:99], -v[252:253]
	v_add_f64 v[112:113], v[112:113], v[114:115]
	v_mul_f64 v[86:87], v[214:215], s[4:5]
	v_mul_f64 v[88:89], v[198:199], s[24:25]
	v_add_f64 v[90:91], v[176:177], v[90:91]
	v_add_f64 v[92:93], v[92:93], v[94:95]
	v_mul_f64 v[94:95], v[162:163], s[36:37]
	v_add_f64 v[96:97], v[96:97], -v[254:255]
	v_add_f64 v[98:99], v[98:99], v[112:113]
	v_add_f64 v[84:85], v[84:85], v[86:87]
	v_mul_f64 v[86:87], v[204:205], s[16:17]
	v_add_f64 v[88:89], v[182:183], v[88:89]
	v_add_f64 v[90:91], v[90:91], v[92:93]
	v_mul_f64 v[92:93], v[180:181], s[24:25]
	v_add_f64 v[94:95], v[94:95], -v[136:137]
	v_add_f64 v[96:97], v[96:97], v[98:99]
	v_add_f64 v[86:87], v[186:187], v[86:87]
	;; [unrolled: 1-line block ×3, first 2 shown]
	v_mul_f64 v[90:91], v[184:185], s[16:17]
	v_add_f64 v[92:93], v[92:93], -v[148:149]
	v_add_f64 v[94:95], v[94:95], v[96:97]
	v_add_f64 v[86:87], v[86:87], v[88:89]
	v_mul_f64 v[88:89], v[194:195], s[4:5]
	v_add_f64 v[90:91], v[90:91], -v[160:161]
	v_add_f64 v[92:93], v[92:93], v[94:95]
	v_add_f64 v[88:89], v[88:89], -v[174:175]
	v_add_f64 v[90:91], v[90:91], v[92:93]
	v_add_f64 v[114:115], v[84:85], v[86:87]
	v_accvgpr_read_b32 v87, a41
	v_add_f64 v[112:113], v[88:89], v[90:91]
	v_mul_f64 v[84:85], v[214:215], s[24:25]
	v_accvgpr_read_b32 v86, a40
	v_accvgpr_read_b32 v91, a35
	v_add_f64 v[84:85], v[86:87], v[84:85]
	v_mul_f64 v[86:87], v[204:205], s[12:13]
	v_accvgpr_read_b32 v90, a34
	;; [unrolled: 4-line block ×8, first 2 shown]
	v_add_f64 v[122:123], v[136:137], v[122:123]
	v_add_f64 v[122:123], v[30:31], v[122:123]
	;; [unrolled: 1-line block ×7, first 2 shown]
	v_accvgpr_read_b32 v141, a27
	v_add_f64 v[86:87], v[86:87], v[90:91]
	v_mul_f64 v[90:91], v[194:195], s[24:25]
	v_accvgpr_read_b32 v140, a26
	v_accvgpr_read_b32 v149, a23
	v_add_f64 v[90:91], v[90:91], -v[140:141]
	v_mul_f64 v[140:141], v[184:185], s[12:13]
	v_accvgpr_read_b32 v148, a22
	v_accvgpr_read_b32 v153, a85
	v_add_f64 v[140:141], v[140:141], -v[148:149]
	v_mul_f64 v[148:149], v[180:181], s[40:41]
	v_accvgpr_read_b32 v152, a84
	v_accvgpr_read_b32 v161, a13
	;; [unrolled: 1-line block ×3, first 2 shown]
	v_mul_f64 v[122:123], v[124:125], s[36:37]
	v_add_f64 v[148:149], v[148:149], -v[152:153]
	v_mul_f64 v[152:153], v[162:163], s[4:5]
	v_accvgpr_read_b32 v160, a12
	v_accvgpr_read_b32 v167, a11
	;; [unrolled: 1-line block ×4, first 2 shown]
	v_mul_f64 v[94:95], v[130:131], s[16:17]
	v_add_f64 v[152:153], v[152:153], -v[160:161]
	v_mul_f64 v[160:161], v[154:155], s[26:27]
	v_accvgpr_read_b32 v166, a10
	v_accvgpr_read_b32 v175, a9
	;; [unrolled: 1-line block ×3, first 2 shown]
	v_add_f64 v[122:123], v[122:123], -v[182:183]
	v_add_f64 v[160:161], v[160:161], -v[166:167]
	v_mul_f64 v[166:167], v[142:143], s[20:21]
	v_accvgpr_read_b32 v174, a8
	v_add_f64 v[94:95], v[94:95], -v[176:177]
	v_add_f64 v[122:123], v[28:29], v[122:123]
	v_add_f64 v[166:167], v[166:167], -v[174:175]
	v_add_f64 v[94:95], v[94:95], v[122:123]
	v_add_f64 v[94:95], v[166:167], v[94:95]
	;; [unrolled: 1-line block ×6, first 2 shown]
	v_accvgpr_read_b32 v187, a83
	v_add_f64 v[86:87], v[84:85], v[86:87]
	v_add_f64 v[84:85], v[90:91], v[94:95]
	v_mul_f64 v[90:91], v[214:215], s[40:41]
	v_accvgpr_read_b32 v186, a82
	v_add_f64 v[90:91], v[186:187], v[90:91]
	v_accvgpr_read_b32 v187, a81
	v_mul_f64 v[140:141], v[204:205], s[36:37]
	v_accvgpr_read_b32 v186, a80
	v_add_f64 v[140:141], v[186:187], v[140:141]
	v_accvgpr_read_b32 v187, a79
	;; [unrolled: 4-line block ×7, first 2 shown]
	v_mul_f64 v[136:137], v[132:133], s[4:5]
	v_accvgpr_read_b32 v186, a56
	v_add_f64 v[136:137], v[186:187], v[136:137]
	v_add_f64 v[136:137], v[30:31], v[136:137]
	;; [unrolled: 1-line block ×3, first 2 shown]
	v_mul_f64 v[132:133], v[132:133], s[40:41]
	v_add_f64 v[96:97], v[174:175], v[96:97]
	v_fma_f64 v[174:175], s[46:47], v[126:127], v[132:133]
	v_fmac_f64_e32 v[132:133], s[48:49], v[126:127]
	v_add_f64 v[174:175], v[30:31], v[174:175]
	v_add_f64 v[126:127], v[30:31], v[132:133]
	;; [unrolled: 1-line block ×13, first 2 shown]
	v_accvgpr_read_b32 v97, a73
	v_add_f64 v[30:31], v[30:31], v[70:71]
	v_mul_f64 v[94:95], v[194:195], s[40:41]
	v_accvgpr_read_b32 v96, a72
	v_add_f64 v[30:31], v[30:31], v[78:79]
	v_add_f64 v[94:95], v[94:95], -v[96:97]
	v_accvgpr_read_b32 v97, a67
	v_add_f64 v[30:31], v[30:31], v[82:83]
	v_mul_f64 v[148:149], v[184:185], s[36:37]
	v_accvgpr_read_b32 v96, a66
	v_add_f64 v[30:31], v[30:31], v[74:75]
	v_add_f64 v[96:97], v[148:149], -v[96:97]
	;; [unrolled: 6-line block ×4, first 2 shown]
	v_accvgpr_read_b32 v149, a51
	v_add_f64 v[22:23], v[22:23], v[26:27]
	v_mul_f64 v[88:89], v[124:125], s[4:5]
	v_accvgpr_read_b32 v141, a63
	v_accvgpr_read_b32 v148, a50
	v_add_f64 v[18:19], v[22:23], v[18:19]
	v_add_f64 v[22:23], v[28:29], v[32:33]
	v_mul_f64 v[122:123], v[162:163], s[24:25]
	v_accvgpr_read_b32 v140, a62
	v_add_f64 v[88:89], v[88:89], -v[148:149]
	v_add_f64 v[22:23], v[22:23], v[36:37]
	v_add_f64 v[122:123], v[122:123], -v[140:141]
	v_accvgpr_read_b32 v141, a59
	v_add_f64 v[88:89], v[28:29], v[88:89]
	v_add_f64 v[22:23], v[22:23], v[40:41]
	v_mul_f64 v[176:177], v[154:155], s[20:21]
	v_accvgpr_read_b32 v140, a58
	v_add_f64 v[88:89], v[98:99], v[88:89]
	v_mul_f64 v[144:145], v[144:145], s[4:5]
	v_add_f64 v[22:23], v[22:23], v[48:49]
	v_accvgpr_read_b32 v137, a65
	v_add_f64 v[140:141], v[176:177], -v[140:141]
	v_add_f64 v[88:89], v[92:93], v[88:89]
	v_mul_f64 v[152:153], v[170:171], s[12:13]
	v_mul_f64 v[156:157], v[156:157], s[36:37]
	v_fma_f64 v[170:171], s[54:55], v[134:135], v[144:145]
	v_fmac_f64_e32 v[144:145], s[10:11], v[134:135]
	v_add_f64 v[22:23], v[22:23], v[52:53]
	v_mul_f64 v[160:161], v[180:181], s[26:27]
	v_accvgpr_read_b32 v136, a64
	v_add_f64 v[88:89], v[140:141], v[88:89]
	v_fma_f64 v[166:167], s[44:45], v[146:147], v[156:157]
	v_add_f64 v[170:171], v[170:171], v[174:175]
	v_fmac_f64_e32 v[156:157], s[38:39], v[146:147]
	v_add_f64 v[126:127], v[144:145], v[126:127]
	v_add_f64 v[22:23], v[22:23], v[64:65]
	v_add_f64 v[136:137], v[160:161], -v[136:137]
	v_add_f64 v[88:89], v[122:123], v[88:89]
	v_mul_f64 v[140:141], v[178:179], s[26:27]
	v_fma_f64 v[160:161], s[58:59], v[158:159], v[152:153]
	v_add_f64 v[166:167], v[166:167], v[170:171]
	v_fmac_f64_e32 v[152:153], s[14:15], v[158:159]
	v_add_f64 v[126:127], v[156:157], v[126:127]
	v_add_f64 v[22:23], v[22:23], v[68:69]
	;; [unrolled: 1-line block ×3, first 2 shown]
	v_mul_f64 v[122:123], v[198:199], s[16:17]
	v_fma_f64 v[148:149], s[34:35], v[168:169], v[140:141]
	v_add_f64 v[160:161], v[160:161], v[166:167]
	v_fmac_f64_e32 v[140:141], s[28:29], v[168:169]
	v_add_f64 v[126:127], v[152:153], v[126:127]
	v_add_f64 v[22:23], v[22:23], v[76:77]
	;; [unrolled: 1-line block ×3, first 2 shown]
	v_mul_f64 v[98:99], v[204:205], s[24:25]
	v_fma_f64 v[136:137], s[56:57], v[188:189], v[122:123]
	v_add_f64 v[148:149], v[148:149], v[160:161]
	v_mul_f64 v[128:129], v[128:129], s[48:49]
	v_fmac_f64_e32 v[122:123], s[18:19], v[188:189]
	v_add_f64 v[126:127], v[140:141], v[126:127]
	v_add_f64 v[22:23], v[22:23], v[80:81]
	;; [unrolled: 1-line block ×3, first 2 shown]
	v_mul_f64 v[96:97], v[214:215], s[20:21]
	v_fma_f64 v[94:95], s[30:31], v[190:191], v[98:99]
	v_add_f64 v[136:137], v[136:137], v[148:149]
	v_mul_f64 v[138:139], v[138:139], s[10:11]
	v_fma_f64 v[186:187], s[40:41], v[124:125], v[128:129]
	v_fmac_f64_e32 v[98:99], s[50:51], v[190:191]
	v_add_f64 v[122:123], v[122:123], v[126:127]
	v_fma_f64 v[124:125], v[124:125], s[40:41], -v[128:129]
	v_add_f64 v[22:23], v[22:23], v[72:73]
	v_fma_f64 v[92:93], s[52:53], v[200:201], v[96:97]
	v_add_f64 v[94:95], v[94:95], v[136:137]
	v_mul_f64 v[136:137], v[208:209], s[22:23]
	v_mul_f64 v[150:151], v[150:151], s[38:39]
	v_fma_f64 v[182:183], s[4:5], v[130:131], v[138:139]
	v_add_f64 v[186:187], v[28:29], v[186:187]
	v_fmac_f64_e32 v[96:97], s[22:23], v[200:201]
	v_add_f64 v[98:99], v[98:99], v[122:123]
	v_fma_f64 v[130:131], v[130:131], s[4:5], -v[138:139]
	v_add_f64 v[124:125], v[28:29], v[124:125]
	v_add_f64 v[22:23], v[22:23], v[60:61]
	;; [unrolled: 1-line block ×3, first 2 shown]
	v_fma_f64 v[92:93], s[20:21], v[194:195], v[136:137]
	v_mul_f64 v[164:165], v[164:165], s[14:15]
	v_fma_f64 v[178:179], s[36:37], v[142:143], v[150:151]
	v_add_f64 v[182:183], v[182:183], v[186:187]
	v_add_f64 v[126:127], v[96:97], v[98:99]
	v_fma_f64 v[96:97], v[194:195], s[20:21], -v[136:137]
	v_fma_f64 v[136:137], v[142:143], s[36:37], -v[150:151]
	v_add_f64 v[124:125], v[130:131], v[124:125]
	v_add_f64 v[22:23], v[22:23], v[56:57]
	v_mul_f64 v[172:173], v[172:173], s[28:29]
	v_fma_f64 v[176:177], s[12:13], v[154:155], v[164:165]
	v_add_f64 v[178:179], v[178:179], v[182:183]
	v_fma_f64 v[134:135], v[154:155], s[12:13], -v[164:165]
	v_add_f64 v[124:125], v[136:137], v[124:125]
	v_add_f64 v[22:23], v[22:23], v[44:45]
	v_mul_f64 v[166:167], v[192:193], s[18:19]
	v_fma_f64 v[174:175], s[26:27], v[162:163], v[172:173]
	v_add_f64 v[176:177], v[176:177], v[178:179]
	;; [unrolled: 6-line block ×3, first 2 shown]
	v_fma_f64 v[122:123], v[180:181], s[16:17], -v[166:167]
	v_add_f64 v[124:125], v[132:133], v[124:125]
	v_add_f64 v[20:21], v[20:21], v[24:25]
	v_accvgpr_read_b32 v229, a1
	v_accvgpr_read_b32 v231, a3
	v_fma_f64 v[160:161], s[24:25], v[184:185], v[148:149]
	v_add_f64 v[170:171], v[170:171], v[174:175]
	v_fma_f64 v[98:99], v[184:185], s[24:25], -v[148:149]
	v_add_f64 v[122:123], v[122:123], v[124:125]
	v_add_f64 v[16:17], v[20:21], v[16:17]
	v_mul_u32_u24_e32 v20, 0x110, v120
	v_accvgpr_read_b32 v228, a0
	v_accvgpr_read_b32 v230, a2
	v_add_f64 v[160:161], v[160:161], v[170:171]
	v_add_f64 v[98:99], v[98:99], v[122:123]
	v_add3_u32 v20, 0, v20, v229
	v_add_f64 v[92:93], v[92:93], v[160:161]
	v_add_f64 v[124:125], v[96:97], v[98:99]
	ds_write_b128 v20, v[16:19]
	ds_write_b128 v20, v[124:127] offset:16
	ds_write_b128 v20, v[88:91] offset:32
	;; [unrolled: 1-line block ×16, first 2 shown]
.LBB0_20:
	s_or_b64 exec, exec, s[42:43]
	s_waitcnt lgkmcnt(0)
	s_barrier
	ds_read_b128 v[24:27], v226
	ds_read_b128 v[20:23], v121 offset:1088
	ds_read_b128 v[44:47], v121 offset:7616
	;; [unrolled: 1-line block ×11, first 2 shown]
	v_cmp_gt_u32_e32 vcc, 34, v120
	s_and_saveexec_b64 s[4:5], vcc
	s_cbranch_execz .LBB0_22
; %bb.21:
	ds_read_b128 v[12:15], v121 offset:3264
	ds_read_b128 v[8:11], v121 offset:7072
	;; [unrolled: 1-line block ×4, first 2 shown]
.LBB0_22:
	s_or_b64 exec, exec, s[4:5]
	s_movk_i32 s11, 0xf1
	v_add_u16_e32 v66, 0x44, v120
	v_mul_lo_u16_sdwa v64, v120, s11 dst_sel:DWORD dst_unused:UNUSED_PAD src0_sel:BYTE_0 src1_sel:DWORD
	v_mul_lo_u16_sdwa v76, v66, s11 dst_sel:DWORD dst_unused:UNUSED_PAD src0_sel:BYTE_0 src1_sel:DWORD
	v_lshrrev_b16_e32 v67, 12, v64
	v_lshrrev_b16_e32 v129, 12, v76
	v_mul_lo_u16_e32 v64, 17, v67
	v_mul_lo_u16_e32 v76, 17, v129
	v_sub_u16_e32 v128, v120, v64
	v_mov_b32_e32 v65, 3
	v_sub_u16_e32 v130, v66, v76
	v_mul_u32_u24_sdwa v64, v128, v65 dst_sel:DWORD dst_unused:UNUSED_PAD src0_sel:BYTE_0 src1_sel:DWORD
	v_mul_u32_u24_sdwa v66, v130, v65 dst_sel:DWORD dst_unused:UNUSED_PAD src0_sel:BYTE_0 src1_sel:DWORD
	v_lshlrev_b32_e32 v64, 4, v64
	v_lshlrev_b32_e32 v66, 4, v66
	global_load_dwordx4 v[68:71], v64, s[8:9] offset:16
	global_load_dwordx4 v[72:75], v64, s[8:9]
	global_load_dwordx4 v[76:79], v66, s[8:9] offset:32
	global_load_dwordx4 v[80:83], v66, s[8:9] offset:16
	global_load_dwordx4 v[84:87], v64, s[8:9] offset:32
	global_load_dwordx4 v[88:91], v66, s[8:9]
	v_add_u16_e32 v64, 0x88, v120
	v_mul_lo_u16_sdwa v66, v64, s11 dst_sel:DWORD dst_unused:UNUSED_PAD src0_sel:BYTE_0 src1_sel:DWORD
	v_lshrrev_b16_e32 v131, 12, v66
	v_mul_lo_u16_e32 v66, 17, v131
	v_sub_u16_e32 v132, v64, v66
	v_mul_u32_u24_sdwa v65, v132, v65 dst_sel:DWORD dst_unused:UNUSED_PAD src0_sel:BYTE_0 src1_sel:DWORD
	v_lshlrev_b32_e32 v65, 4, v65
	global_load_dwordx4 v[92:95], v65, s[8:9]
	global_load_dwordx4 v[96:99], v65, s[8:9] offset:16
	global_load_dwordx4 v[100:103], v65, s[8:9] offset:32
	s_movk_i32 s12, 0x440
	s_waitcnt lgkmcnt(0)
	s_barrier
	v_add_u32_e32 v65, 0xcc, v120
	s_mov_b32 s10, 0xf0f1
	v_mul_u32_u24_sdwa v66, v65, s10 dst_sel:DWORD dst_unused:UNUSED_PAD src0_sel:WORD_0 src1_sel:DWORD
	s_waitcnt vmcnt(6)
	v_mul_f64 v[114:115], v[54:55], v[78:79]
	v_mul_f64 v[106:107], v[46:47], v[70:71]
	;; [unrolled: 1-line block ×5, first 2 shown]
	s_waitcnt vmcnt(4)
	v_mul_f64 v[108:109], v[62:63], v[86:87]
	v_mul_f64 v[86:87], v[60:61], v[86:87]
	s_waitcnt vmcnt(3)
	v_mul_f64 v[110:111], v[50:51], v[90:91]
	v_mul_f64 v[90:91], v[48:49], v[90:91]
	;; [unrolled: 1-line block ×5, first 2 shown]
	s_waitcnt vmcnt(2)
	v_mul_f64 v[122:123], v[34:35], v[94:95]
	v_mul_f64 v[94:95], v[32:33], v[94:95]
	s_waitcnt vmcnt(1)
	v_mul_f64 v[124:125], v[38:39], v[98:99]
	v_mul_f64 v[98:99], v[36:37], v[98:99]
	v_fmac_f64_e32 v[74:75], v[58:59], v[72:73]
	v_fma_f64 v[44:45], v[44:45], v[68:69], -v[106:107]
	v_fmac_f64_e32 v[70:71], v[46:47], v[68:69]
	v_fmac_f64_e32 v[86:87], v[62:63], v[84:85]
	;; [unrolled: 1-line block ×5, first 2 shown]
	s_waitcnt vmcnt(0)
	v_mul_f64 v[126:127], v[42:43], v[102:103]
	v_mul_f64 v[102:103], v[40:41], v[102:103]
	v_fma_f64 v[56:57], v[56:57], v[72:73], -v[104:105]
	v_fma_f64 v[46:47], v[60:61], v[84:85], -v[108:109]
	;; [unrolled: 1-line block ×5, first 2 shown]
	v_fmac_f64_e32 v[94:95], v[34:35], v[92:93]
	v_fmac_f64_e32 v[98:99], v[38:39], v[96:97]
	v_add_f64 v[32:33], v[24:25], -v[44:45]
	v_add_f64 v[34:35], v[26:27], -v[70:71]
	;; [unrolled: 1-line block ×5, first 2 shown]
	v_fma_f64 v[28:29], v[28:29], v[80:81], -v[112:113]
	v_fma_f64 v[54:55], v[36:37], v[96:97], -v[124:125]
	;; [unrolled: 1-line block ×3, first 2 shown]
	v_fmac_f64_e32 v[102:103], v[42:43], v[100:101]
	v_add_f64 v[36:37], v[56:57], -v[46:47]
	v_add_f64 v[46:47], v[48:49], -v[30:31]
	v_fma_f64 v[40:41], v[24:25], 2.0, -v[32:33]
	v_fma_f64 v[42:43], v[26:27], 2.0, -v[34:35]
	;; [unrolled: 1-line block ×3, first 2 shown]
	v_add_f64 v[24:25], v[32:33], -v[38:39]
	v_fma_f64 v[62:63], v[22:23], 2.0, -v[60:61]
	v_fma_f64 v[38:39], v[90:91], 2.0, -v[44:45]
	v_add_f64 v[50:51], v[20:21], -v[28:29]
	v_add_f64 v[26:27], v[34:35], v[36:37]
	v_add_f64 v[22:23], v[42:43], -v[30:31]
	v_add_f64 v[38:39], v[62:63], -v[38:39]
	v_fma_f64 v[28:29], v[56:57], 2.0, -v[36:37]
	v_fma_f64 v[36:37], v[48:49], 2.0, -v[46:47]
	;; [unrolled: 1-line block ×5, first 2 shown]
	v_add_f64 v[44:45], v[50:51], -v[44:45]
	v_add_f64 v[46:47], v[60:61], v[46:47]
	v_add_f64 v[68:69], v[16:17], -v[54:55]
	v_add_f64 v[62:63], v[52:53], -v[58:59]
	v_fma_f64 v[56:57], v[20:21], 2.0, -v[50:51]
	v_fma_f64 v[48:49], v[50:51], 2.0, -v[44:45]
	;; [unrolled: 1-line block ×3, first 2 shown]
	v_add_f64 v[70:71], v[18:19], -v[98:99]
	v_fma_f64 v[16:17], v[16:17], 2.0, -v[68:69]
	v_add_f64 v[60:61], v[94:95], -v[102:103]
	v_fma_f64 v[52:53], v[52:53], 2.0, -v[62:63]
	v_add_f64 v[20:21], v[40:41], -v[28:29]
	v_add_f64 v[36:37], v[56:57], -v[36:37]
	v_fma_f64 v[18:19], v[18:19], 2.0, -v[70:71]
	v_fma_f64 v[54:55], v[94:95], 2.0, -v[60:61]
	v_add_f64 v[52:53], v[16:17], -v[52:53]
	v_fma_f64 v[28:29], v[32:33], 2.0, -v[24:25]
	v_fma_f64 v[32:33], v[40:41], 2.0, -v[20:21]
	;; [unrolled: 1-line block ×3, first 2 shown]
	v_add_f64 v[54:55], v[18:19], -v[54:55]
	v_fma_f64 v[56:57], v[16:17], 2.0, -v[52:53]
	v_mov_b32_e32 v16, 4
	v_fma_f64 v[58:59], v[18:19], 2.0, -v[54:55]
	v_mad_u32_u24 v17, v67, s12, 0
	v_lshlrev_b32_sdwa v18, v16, v128 dst_sel:DWORD dst_unused:UNUSED_PAD src0_sel:DWORD src1_sel:BYTE_0
	v_add3_u32 v17, v17, v18, v229
	ds_write_b128 v17, v[32:35]
	ds_write_b128 v17, v[28:31] offset:272
	ds_write_b128 v17, v[20:23] offset:544
	;; [unrolled: 1-line block ×3, first 2 shown]
	v_mad_u32_u24 v17, v129, s12, 0
	v_lshlrev_b32_sdwa v18, v16, v130 dst_sel:DWORD dst_unused:UNUSED_PAD src0_sel:DWORD src1_sel:BYTE_0
	v_add3_u32 v17, v17, v18, v229
	ds_write_b128 v17, v[40:43]
	ds_write_b128 v17, v[48:51] offset:272
	ds_write_b128 v17, v[36:39] offset:544
	;; [unrolled: 1-line block ×3, first 2 shown]
	v_mad_u32_u24 v17, v131, s12, 0
	v_lshlrev_b32_sdwa v18, v16, v132 dst_sel:DWORD dst_unused:UNUSED_PAD src0_sel:DWORD src1_sel:BYTE_0
	v_add_f64 v[60:61], v[68:69], -v[60:61]
	v_add_f64 v[62:63], v[70:71], v[62:63]
	v_add3_u32 v17, v17, v18, v229
	v_fma_f64 v[68:69], v[68:69], 2.0, -v[60:61]
	v_fma_f64 v[70:71], v[70:71], 2.0, -v[62:63]
	ds_write_b128 v17, v[56:59]
	ds_write_b128 v17, v[68:71] offset:272
	ds_write_b128 v17, v[52:55] offset:544
	;; [unrolled: 1-line block ×3, first 2 shown]
	s_and_saveexec_b64 s[4:5], vcc
	s_cbranch_execz .LBB0_24
; %bb.23:
	v_lshrrev_b32_e32 v17, 20, v66
	v_mul_lo_u16_e32 v17, 17, v17
	v_sub_u16_e32 v17, v65, v17
	v_mul_u32_u24_e32 v18, 3, v17
	v_lshlrev_b32_e32 v30, 4, v18
	global_load_dwordx4 v[18:21], v30, s[8:9] offset:16
	global_load_dwordx4 v[22:25], v30, s[8:9]
	global_load_dwordx4 v[26:29], v30, s[8:9] offset:32
	v_mul_lo_u16_sdwa v30, v65, s11 dst_sel:DWORD dst_unused:UNUSED_PAD src0_sel:BYTE_0 src1_sel:DWORD
	v_lshrrev_b16_e32 v30, 12, v30
	v_mad_u32_u24 v30, v30, s12, 0
	v_lshlrev_b32_e32 v17, 4, v17
	v_add3_u32 v17, v30, v17, v229
	s_waitcnt vmcnt(2)
	v_mul_f64 v[30:31], v[4:5], v[20:21]
	s_waitcnt vmcnt(1)
	v_mul_f64 v[32:33], v[10:11], v[24:25]
	;; [unrolled: 2-line block ×3, first 2 shown]
	v_mul_f64 v[20:21], v[6:7], v[20:21]
	v_mul_f64 v[24:25], v[8:9], v[24:25]
	;; [unrolled: 1-line block ×3, first 2 shown]
	v_fmac_f64_e32 v[30:31], v[6:7], v[18:19]
	v_fma_f64 v[6:7], v[8:9], v[22:23], -v[32:33]
	v_fma_f64 v[0:1], v[0:1], v[26:27], -v[34:35]
	;; [unrolled: 1-line block ×3, first 2 shown]
	v_fmac_f64_e32 v[24:25], v[10:11], v[22:23]
	v_fmac_f64_e32 v[28:29], v[2:3], v[26:27]
	v_add_f64 v[8:9], v[14:15], -v[30:31]
	v_add_f64 v[10:11], v[6:7], -v[0:1]
	;; [unrolled: 1-line block ×4, first 2 shown]
	v_add_f64 v[2:3], v[8:9], v[10:11]
	v_add_f64 v[0:1], v[4:5], -v[18:19]
	v_fma_f64 v[14:15], v[14:15], 2.0, -v[8:9]
	v_fma_f64 v[18:19], v[24:25], 2.0, -v[18:19]
	;; [unrolled: 1-line block ×6, first 2 shown]
	v_add_f64 v[10:11], v[14:15], -v[18:19]
	v_add_f64 v[8:9], v[12:13], -v[20:21]
	v_fma_f64 v[14:15], v[14:15], 2.0, -v[10:11]
	v_fma_f64 v[12:13], v[12:13], 2.0, -v[8:9]
	ds_write_b128 v17, v[4:7] offset:272
	ds_write_b128 v17, v[8:11] offset:544
	ds_write_b128 v17, v[12:15]
	ds_write_b128 v17, v[0:3] offset:816
.LBB0_24:
	s_or_b64 exec, exec, s[4:5]
	s_movk_i32 s4, 0x79
	v_mul_lo_u16_sdwa v2, v64, s4 dst_sel:DWORD dst_unused:UNUSED_PAD src0_sel:BYTE_0 src1_sel:DWORD
	v_lshrrev_b16_e32 v2, 13, v2
	v_mul_lo_u16_e32 v4, 0x44, v2
	v_add_u32_e32 v17, 0x154, v120
	v_sub_u16_e32 v4, v64, v4
	v_lshrrev_b32_e32 v9, 22, v66
	v_lshlrev_b32_sdwa v88, v16, v4 dst_sel:DWORD dst_unused:UNUSED_PAD src0_sel:DWORD src1_sel:BYTE_0
	v_mul_lo_u16_e32 v9, 0x44, v9
	v_mul_u32_u24_sdwa v16, v17, s10 dst_sel:DWORD dst_unused:UNUSED_PAD src0_sel:WORD_0 src1_sel:DWORD
	v_add_u32_e32 v8, 0x110, v120
	v_sub_u16_e32 v9, v65, v9
	v_lshrrev_b32_e32 v16, 22, v16
	v_lshlrev_b32_e32 v89, 4, v9
	v_mul_u32_u24_sdwa v9, v8, s10 dst_sel:DWORD dst_unused:UNUSED_PAD src0_sel:WORD_0 src1_sel:DWORD
	v_mul_lo_u16_e32 v16, 0x44, v16
	v_add_u32_e32 v18, 0x198, v120
	v_lshl_add_u64 v[0:1], v[230:231], 4, s[8:9]
	v_lshrrev_b32_e32 v9, 22, v9
	v_sub_u16_e32 v16, v17, v16
	s_waitcnt lgkmcnt(0)
	s_barrier
	global_load_dwordx4 v[0:3], v[0:1], off offset:816
	v_mul_lo_u16_e32 v9, 0x44, v9
	v_lshlrev_b32_e32 v91, 4, v16
	v_mul_u32_u24_sdwa v16, v18, s10 dst_sel:DWORD dst_unused:UNUSED_PAD src0_sel:WORD_0 src1_sel:DWORD
	global_load_dwordx4 v[4:7], v88, s[8:9] offset:816
	v_sub_u16_e32 v12, v8, v9
	global_load_dwordx4 v[8:11], v89, s[8:9] offset:816
	v_lshrrev_b32_e32 v16, 22, v16
	v_mul_lo_u16_e32 v16, 0x44, v16
	v_lshlrev_b32_e32 v90, 4, v12
	v_sub_u16_e32 v20, v18, v16
	global_load_dwordx4 v[12:15], v90, s[8:9] offset:816
	global_load_dwordx4 v[16:19], v91, s[8:9] offset:816
	v_lshlrev_b32_e32 v92, 4, v20
	global_load_dwordx4 v[20:23], v92, s[8:9] offset:816
	ds_read_b128 v[24:27], v121 offset:7616
	ds_read_b128 v[28:31], v226
	ds_read_b128 v[32:35], v121 offset:1088
	ds_read_b128 v[36:39], v121 offset:8704
	;; [unrolled: 1-line block ×12, first 2 shown]
	s_waitcnt lgkmcnt(0)
	s_barrier
	s_mov_b64 s[4:5], 0x1980
	s_mov_b32 s12, 0xe976ee23
	s_mov_b32 s13, 0xbfe11646
	s_mov_b32 s14, 0xaaaaaaaa
	s_mov_b32 s10, 0x429ad128
	s_mov_b32 s15, 0xbff2aaaa
	s_mov_b32 s16, 0x5476071b
	s_mov_b32 s20, 0xb247c609
	s_mov_b32 s11, 0x3febfeb5
	s_mov_b32 s17, 0x3fe77f67
	s_mov_b32 s19, 0xbfe77f67
	s_mov_b32 s18, s16
	s_mov_b32 s21, 0x3fd5d0dc
	s_mov_b32 s22, 0x37c3f68c
	s_mov_b32 s25, 0xbfd5d0dc
	s_mov_b32 s24, s20
	s_mov_b32 s23, 0x3fdc38aa
	s_waitcnt vmcnt(5)
	v_mul_f64 v[80:81], v[26:27], v[2:3]
	v_mul_f64 v[84:85], v[38:39], v[2:3]
	;; [unrolled: 1-line block ×4, first 2 shown]
	v_fma_f64 v[2:3], v[24:25], v[0:1], -v[80:81]
	v_fma_f64 v[24:25], v[36:37], v[0:1], -v[84:85]
	v_fmac_f64_e32 v[86:87], v[38:39], v[0:1]
	s_waitcnt vmcnt(3)
	v_mul_f64 v[36:37], v[54:55], v[10:11]
	v_mul_f64 v[38:39], v[52:53], v[10:11]
	v_fmac_f64_e32 v[82:83], v[26:27], v[0:1]
	v_fma_f64 v[36:37], v[52:53], v[8:9], -v[36:37]
	v_fmac_f64_e32 v[38:39], v[54:55], v[8:9]
	v_mul_f64 v[8:9], v[42:43], v[6:7]
	v_mul_f64 v[6:7], v[40:41], v[6:7]
	v_add_f64 v[0:1], v[28:29], -v[2:3]
	v_add_f64 v[2:3], v[30:31], -v[82:83]
	v_fma_f64 v[8:9], v[40:41], v[4:5], -v[8:9]
	v_fmac_f64_e32 v[6:7], v[42:43], v[4:5]
	v_add_f64 v[24:25], v[32:33], -v[24:25]
	v_add_f64 v[26:27], v[34:35], -v[86:87]
	v_fma_f64 v[28:29], v[28:29], 2.0, -v[0:1]
	v_fma_f64 v[30:31], v[30:31], 2.0, -v[2:3]
	s_waitcnt vmcnt(2)
	v_mul_f64 v[10:11], v[58:59], v[14:15]
	v_mul_f64 v[52:53], v[56:57], v[14:15]
	s_waitcnt vmcnt(1)
	v_mul_f64 v[14:15], v[74:75], v[18:19]
	v_add_f64 v[4:5], v[44:45], -v[8:9]
	v_add_f64 v[6:7], v[46:47], -v[6:7]
	v_fma_f64 v[32:33], v[32:33], 2.0, -v[24:25]
	v_fma_f64 v[34:35], v[34:35], 2.0, -v[26:27]
	v_mul_f64 v[54:55], v[72:73], v[18:19]
	s_waitcnt vmcnt(0)
	v_mul_f64 v[18:19], v[78:79], v[22:23]
	v_mul_f64 v[80:81], v[76:77], v[22:23]
	v_fma_f64 v[22:23], v[56:57], v[12:13], -v[10:11]
	v_fmac_f64_e32 v[52:53], v[58:59], v[12:13]
	v_fma_f64 v[40:41], v[72:73], v[16:17], -v[14:15]
	v_fma_f64 v[8:9], v[44:45], 2.0, -v[4:5]
	v_fma_f64 v[10:11], v[46:47], 2.0, -v[6:7]
	v_add_f64 v[12:13], v[48:49], -v[36:37]
	v_add_f64 v[14:15], v[50:51], -v[38:39]
	ds_write_b128 v121, v[28:31]
	ds_write_b128 v121, v[0:3] offset:1088
	ds_write_b128 v121, v[32:35] offset:2176
	;; [unrolled: 1-line block ×3, first 2 shown]
	v_add3_u32 v0, 0, v88, v229
	v_fmac_f64_e32 v[54:55], v[74:75], v[16:17]
	v_fma_f64 v[56:57], v[76:77], v[20:21], -v[18:19]
	v_fmac_f64_e32 v[80:81], v[78:79], v[20:21]
	v_fma_f64 v[16:17], v[48:49], 2.0, -v[12:13]
	v_fma_f64 v[18:19], v[50:51], 2.0, -v[14:15]
	v_add_f64 v[20:21], v[60:61], -v[22:23]
	v_add_f64 v[22:23], v[62:63], -v[52:53]
	ds_write_b128 v0, v[8:11] offset:4352
	ds_write_b128 v0, v[4:7] offset:5440
	v_add3_u32 v0, 0, v89, v229
	v_fma_f64 v[36:37], v[60:61], 2.0, -v[20:21]
	v_fma_f64 v[38:39], v[62:63], 2.0, -v[22:23]
	v_add_f64 v[40:41], v[64:65], -v[40:41]
	v_add_f64 v[42:43], v[66:67], -v[54:55]
	ds_write_b128 v0, v[16:19] offset:6528
	ds_write_b128 v0, v[12:15] offset:7616
	v_add3_u32 v0, 0, v90, v229
	;; [unrolled: 7-line block ×3, first 2 shown]
	v_fma_f64 v[52:53], v[68:69], 2.0, -v[48:49]
	v_fma_f64 v[54:55], v[70:71], 2.0, -v[50:51]
	ds_write_b128 v0, v[44:47] offset:10880
	ds_write_b128 v0, v[40:43] offset:11968
	v_add3_u32 v0, 0, v92, v229
	ds_write_b128 v0, v[52:55] offset:13056
	ds_write_b128 v0, v[48:51] offset:14144
	v_mul_u32_u24_e32 v0, 6, v120
	v_lshlrev_b32_e32 v8, 4, v0
	s_waitcnt lgkmcnt(0)
	s_barrier
	global_load_dwordx4 v[4:7], v8, s[8:9] offset:1904
	global_load_dwordx4 v[10:13], v8, s[8:9] offset:1920
	;; [unrolled: 1-line block ×6, first 2 shown]
	v_mov_b32_e32 v9, 0
	v_lshl_add_u64 v[0:1], s[8:9], 0, v[8:9]
	v_lshl_add_u64 v[0:1], v[0:1], 0, s[4:5]
	global_load_dwordx4 v[30:33], v[0:1], off offset:1904
	global_load_dwordx4 v[34:37], v[0:1], off offset:1920
	;; [unrolled: 1-line block ×6, first 2 shown]
	ds_read_b128 v[54:57], v226
	ds_read_b128 v[0:3], v121 offset:1088
	ds_read_b128 v[58:61], v121 offset:2176
	;; [unrolled: 1-line block ×13, first 2 shown]
	s_mov_b32 s8, 0x37e14327
	s_mov_b32 s4, 0x36b3c0b5
	;; [unrolled: 1-line block ×4, first 2 shown]
	v_add_u32_e32 v8, v227, v229
	s_waitcnt lgkmcnt(0)
	s_barrier
	s_waitcnt vmcnt(11)
	v_mul_f64 v[106:107], v[60:61], v[6:7]
	v_mul_f64 v[6:7], v[58:59], v[6:7]
	s_waitcnt vmcnt(10)
	v_mul_f64 v[108:109], v[68:69], v[12:13]
	v_mul_f64 v[12:13], v[66:67], v[12:13]
	v_fma_f64 v[58:59], v[58:59], v[4:5], -v[106:107]
	v_fmac_f64_e32 v[6:7], v[60:61], v[4:5]
	v_fma_f64 v[4:5], v[66:67], v[10:11], -v[108:109]
	v_fmac_f64_e32 v[12:13], v[68:69], v[10:11]
	s_waitcnt vmcnt(9)
	v_mul_f64 v[10:11], v[76:77], v[16:17]
	v_mul_f64 v[16:17], v[74:75], v[16:17]
	v_fma_f64 v[10:11], v[74:75], v[14:15], -v[10:11]
	v_fmac_f64_e32 v[16:17], v[76:77], v[14:15]
	s_waitcnt vmcnt(8)
	v_mul_f64 v[14:15], v[84:85], v[20:21]
	v_mul_f64 v[20:21], v[82:83], v[20:21]
	;; [unrolled: 5-line block ×4, first 2 shown]
	v_fma_f64 v[22:23], v[98:99], v[26:27], -v[22:23]
	v_fmac_f64_e32 v[28:29], v[100:101], v[26:27]
	s_waitcnt vmcnt(5)
	v_mul_f64 v[26:27], v[64:65], v[32:33]
	v_fma_f64 v[60:61], v[62:63], v[30:31], -v[26:27]
	v_mul_f64 v[62:63], v[62:63], v[32:33]
	s_waitcnt vmcnt(4)
	v_mul_f64 v[26:27], v[72:73], v[36:37]
	v_fmac_f64_e32 v[62:63], v[64:65], v[30:31]
	v_fma_f64 v[64:65], v[70:71], v[34:35], -v[26:27]
	v_mul_f64 v[36:37], v[70:71], v[36:37]
	s_waitcnt vmcnt(3)
	v_mul_f64 v[26:27], v[80:81], v[40:41]
	v_fmac_f64_e32 v[36:37], v[72:73], v[34:35]
	;; [unrolled: 5-line block ×5, first 2 shown]
	v_fma_f64 v[46:47], v[102:103], v[50:51], -v[26:27]
	v_add_f64 v[26:27], v[58:59], v[22:23]
	v_add_f64 v[30:31], v[6:7], v[28:29]
	v_add_f64 v[6:7], v[6:7], -v[28:29]
	v_add_f64 v[28:29], v[4:5], v[18:19]
	v_add_f64 v[32:33], v[12:13], v[24:25]
	v_add_f64 v[4:5], v[4:5], -v[18:19]
	v_add_f64 v[12:13], v[12:13], -v[24:25]
	v_add_f64 v[18:19], v[10:11], v[14:15]
	v_add_f64 v[24:25], v[16:17], v[20:21]
	v_add_f64 v[10:11], v[14:15], -v[10:11]
	v_add_f64 v[14:15], v[20:21], -v[16:17]
	v_add_f64 v[16:17], v[28:29], v[26:27]
	v_mul_f64 v[52:53], v[102:103], v[52:53]
	v_add_f64 v[22:23], v[58:59], -v[22:23]
	v_add_f64 v[20:21], v[32:33], v[30:31]
	v_add_f64 v[16:17], v[18:19], v[16:17]
	v_fmac_f64_e32 v[52:53], v[104:105], v[50:51]
	v_add_f64 v[50:51], v[28:29], -v[26:27]
	v_add_f64 v[26:27], v[26:27], -v[18:19]
	;; [unrolled: 1-line block ×3, first 2 shown]
	v_add_f64 v[66:67], v[10:11], v[4:5]
	v_add_f64 v[68:69], v[14:15], v[12:13]
	v_add_f64 v[70:71], v[10:11], -v[4:5]
	v_add_f64 v[72:73], v[14:15], -v[12:13]
	v_add_f64 v[74:75], v[4:5], -v[22:23]
	v_add_f64 v[18:19], v[24:25], v[20:21]
	v_add_f64 v[4:5], v[54:55], v[16:17]
	v_add_f64 v[58:59], v[32:33], -v[30:31]
	v_add_f64 v[30:31], v[30:31], -v[24:25]
	;; [unrolled: 1-line block ×6, first 2 shown]
	v_add_f64 v[20:21], v[66:67], v[22:23]
	v_add_f64 v[22:23], v[68:69], v[6:7]
	;; [unrolled: 1-line block ×3, first 2 shown]
	v_mul_f64 v[66:67], v[72:73], s[12:13]
	v_mov_b64_e32 v[72:73], v[4:5]
	v_mul_f64 v[24:25], v[26:27], s[8:9]
	v_mul_f64 v[26:27], v[30:31], s[8:9]
	;; [unrolled: 1-line block ×5, first 2 shown]
	v_fmac_f64_e32 v[72:73], s[14:15], v[16:17]
	v_mov_b64_e32 v[16:17], v[6:7]
	v_mul_f64 v[68:69], v[74:75], s[10:11]
	v_mul_f64 v[70:71], v[12:13], s[10:11]
	v_fmac_f64_e32 v[16:17], s[14:15], v[18:19]
	v_fma_f64 v[18:19], v[50:51], s[16:17], -v[30:31]
	v_fma_f64 v[30:31], v[58:59], s[16:17], -v[54:55]
	;; [unrolled: 1-line block ×3, first 2 shown]
	v_fmac_f64_e32 v[24:25], s[4:5], v[28:29]
	v_fma_f64 v[28:29], v[58:59], s[18:19], -v[26:27]
	v_fmac_f64_e32 v[26:27], s[4:5], v[32:33]
	v_fma_f64 v[32:33], v[74:75], s[10:11], -v[56:57]
	;; [unrolled: 2-line block ×4, first 2 shown]
	v_fma_f64 v[68:69], v[14:15], s[24:25], -v[70:71]
	v_add_f64 v[70:71], v[24:25], v[72:73]
	v_add_f64 v[74:75], v[26:27], v[16:17]
	;; [unrolled: 1-line block ×4, first 2 shown]
	v_fmac_f64_e32 v[56:57], s[22:23], v[20:21]
	v_fmac_f64_e32 v[32:33], s[22:23], v[20:21]
	;; [unrolled: 1-line block ×3, first 2 shown]
	v_add_f64 v[30:31], v[50:51], v[72:73]
	v_add_f64 v[28:29], v[28:29], v[16:17]
	v_fmac_f64_e32 v[66:67], s[22:23], v[22:23]
	v_fmac_f64_e32 v[58:59], s[22:23], v[20:21]
	;; [unrolled: 1-line block ×3, first 2 shown]
	v_add_f64 v[12:13], v[74:75], -v[56:57]
	v_add_f64 v[18:19], v[24:25], -v[54:55]
	v_add_f64 v[20:21], v[32:33], v[26:27]
	v_add_f64 v[22:23], v[54:55], v[24:25]
	v_add_f64 v[24:25], v[26:27], -v[32:33]
	v_add_f64 v[32:33], v[56:57], v[74:75]
	v_add_f64 v[50:51], v[60:61], v[46:47]
	;; [unrolled: 1-line block ×3, first 2 shown]
	v_add_f64 v[16:17], v[28:29], -v[58:59]
	v_add_f64 v[28:29], v[58:59], v[28:29]
	v_add_f64 v[54:55], v[62:63], v[52:53]
	v_add_f64 v[46:47], v[60:61], -v[46:47]
	v_add_f64 v[58:59], v[36:37], v[48:49]
	v_add_f64 v[36:37], v[36:37], -v[48:49]
	v_add_f64 v[48:49], v[34:35], v[38:39]
	v_add_f64 v[60:61], v[40:41], v[44:45]
	v_add_f64 v[34:35], v[38:39], -v[34:35]
	v_add_f64 v[38:39], v[44:45], -v[40:41]
	v_add_f64 v[40:41], v[56:57], v[50:51]
	v_add_f64 v[44:45], v[58:59], v[54:55]
	;; [unrolled: 1-line block ×3, first 2 shown]
	v_add_f64 v[52:53], v[62:63], -v[52:53]
	v_add_f64 v[42:43], v[64:65], -v[42:43]
	v_add_f64 v[44:45], v[60:61], v[44:45]
	v_add_f64 v[0:1], v[0:1], v[40:41]
	;; [unrolled: 1-line block ×4, first 2 shown]
	v_add_f64 v[26:27], v[30:31], -v[68:69]
	v_add_f64 v[30:31], v[70:71], -v[66:67]
	;; [unrolled: 1-line block ×8, first 2 shown]
	v_add_f64 v[66:67], v[34:35], v[42:43]
	v_add_f64 v[68:69], v[38:39], v[36:37]
	v_add_f64 v[70:71], v[34:35], -v[42:43]
	v_add_f64 v[72:73], v[38:39], -v[36:37]
	;; [unrolled: 1-line block ×4, first 2 shown]
	v_add_f64 v[2:3], v[2:3], v[44:45]
	v_mov_b64_e32 v[74:75], v[0:1]
	v_add_f64 v[34:35], v[46:47], -v[34:35]
	v_add_f64 v[38:39], v[52:53], -v[38:39]
	v_add_f64 v[46:47], v[66:67], v[46:47]
	v_add_f64 v[48:49], v[68:69], v[52:53]
	v_mul_f64 v[50:51], v[50:51], s[8:9]
	v_mul_f64 v[52:53], v[54:55], s[8:9]
	;; [unrolled: 1-line block ×8, first 2 shown]
	v_fmac_f64_e32 v[74:75], s[14:15], v[40:41]
	v_mov_b64_e32 v[40:41], v[2:3]
	v_fmac_f64_e32 v[40:41], s[14:15], v[44:45]
	v_fma_f64 v[44:45], s[4:5], v[56:57], v[50:51]
	v_fma_f64 v[54:55], v[62:63], s[16:17], -v[54:55]
	v_fma_f64 v[56:57], v[64:65], s[16:17], -v[60:61]
	;; [unrolled: 1-line block ×4, first 2 shown]
	v_fmac_f64_e32 v[52:53], s[4:5], v[58:59]
	v_fma_f64 v[58:59], s[20:21], v[34:35], v[66:67]
	v_fma_f64 v[62:63], v[42:43], s[10:11], -v[66:67]
	v_fma_f64 v[64:65], v[36:37], s[10:11], -v[68:69]
	v_fmac_f64_e32 v[68:69], s[20:21], v[38:39]
	v_fma_f64 v[66:67], v[34:35], s[24:25], -v[70:71]
	v_fma_f64 v[70:71], v[38:39], s[24:25], -v[72:73]
	v_add_f64 v[72:73], v[44:45], v[74:75]
	v_add_f64 v[76:77], v[52:53], v[40:41]
	;; [unrolled: 1-line block ×6, first 2 shown]
	v_fmac_f64_e32 v[58:59], s[22:23], v[46:47]
	v_fmac_f64_e32 v[68:69], s[22:23], v[48:49]
	;; [unrolled: 1-line block ×6, first 2 shown]
	v_add_f64 v[34:35], v[68:69], v[72:73]
	v_add_f64 v[36:37], v[76:77], -v[58:59]
	v_add_f64 v[38:39], v[70:71], v[50:51]
	v_add_f64 v[40:41], v[56:57], -v[66:67]
	v_add_f64 v[42:43], v[52:53], -v[64:65]
	v_add_f64 v[44:45], v[62:63], v[54:55]
	v_add_f64 v[46:47], v[64:65], v[52:53]
	v_add_f64 v[48:49], v[54:55], -v[62:63]
	v_add_f64 v[50:51], v[50:51], -v[70:71]
	v_add_f64 v[52:53], v[66:67], v[56:57]
	v_add_f64 v[54:55], v[72:73], -v[68:69]
	v_add_f64 v[56:57], v[58:59], v[76:77]
	ds_write_b128 v121, v[4:7]
	ds_write_b128 v121, v[10:13] offset:2176
	ds_write_b128 v121, v[14:17] offset:4352
	;; [unrolled: 1-line block ×13, first 2 shown]
	s_waitcnt lgkmcnt(0)
	s_barrier
	s_and_saveexec_b64 s[4:5], s[0:1]
	s_cbranch_execz .LBB0_26
; %bb.25:
	v_mul_lo_u32 v0, s3, v118
	v_mul_lo_u32 v1, s2, v119
	v_mad_u64_u32 v[4:5], s[0:1], s2, v118, 0
	v_add3_u32 v5, v5, v1, v0
	v_lshl_add_u32 v14, v120, 4, v228
	ds_read_b128 v[0:3], v14
	v_lshl_add_u64 v[4:5], v[4:5], 4, s[6:7]
	v_lshl_add_u64 v[10:11], v[116:117], 4, v[4:5]
	ds_read_b128 v[4:7], v14 offset:1088
	v_mov_b32_e32 v121, v9
	v_lshl_add_u64 v[12:13], v[120:121], 4, v[10:11]
	v_add_u32_e32 v8, 0x44, v120
	s_waitcnt lgkmcnt(1)
	global_store_dwordx4 v[12:13], v[0:3], off
	v_lshl_add_u64 v[12:13], v[8:9], 4, v[10:11]
	ds_read_b128 v[0:3], v14 offset:2176
	s_waitcnt lgkmcnt(1)
	global_store_dwordx4 v[12:13], v[4:7], off
	ds_read_b128 v[4:7], v14 offset:3264
	v_add_u32_e32 v8, 0x88, v120
	v_lshl_add_u64 v[12:13], v[8:9], 4, v[10:11]
	v_add_u32_e32 v8, 0xcc, v120
	s_waitcnt lgkmcnt(1)
	global_store_dwordx4 v[12:13], v[0:3], off
	v_lshl_add_u64 v[12:13], v[8:9], 4, v[10:11]
	ds_read_b128 v[0:3], v14 offset:4352
	s_waitcnt lgkmcnt(1)
	global_store_dwordx4 v[12:13], v[4:7], off
	ds_read_b128 v[4:7], v14 offset:5440
	v_add_u32_e32 v8, 0x110, v120
	;; [unrolled: 10-line block ×6, first 2 shown]
	v_lshl_add_u64 v[12:13], v[8:9], 4, v[10:11]
	v_add_u32_e32 v8, 0x374, v120
	s_waitcnt lgkmcnt(1)
	global_store_dwordx4 v[12:13], v[0:3], off
	s_nop 1
	v_lshl_add_u64 v[0:1], v[8:9], 4, v[10:11]
	s_waitcnt lgkmcnt(0)
	global_store_dwordx4 v[0:1], v[4:7], off
.LBB0_26:
	s_endpgm
	.section	.rodata,"a",@progbits
	.p2align	6, 0x0
	.amdhsa_kernel fft_rtc_fwd_len952_factors_17_4_2_7_wgs_204_tpt_68_halfLds_dp_op_CI_CI_unitstride_sbrr_C2R_dirReg
		.amdhsa_group_segment_fixed_size 0
		.amdhsa_private_segment_fixed_size 0
		.amdhsa_kernarg_size 104
		.amdhsa_user_sgpr_count 2
		.amdhsa_user_sgpr_dispatch_ptr 0
		.amdhsa_user_sgpr_queue_ptr 0
		.amdhsa_user_sgpr_kernarg_segment_ptr 1
		.amdhsa_user_sgpr_dispatch_id 0
		.amdhsa_user_sgpr_kernarg_preload_length 0
		.amdhsa_user_sgpr_kernarg_preload_offset 0
		.amdhsa_user_sgpr_private_segment_size 0
		.amdhsa_uses_dynamic_stack 0
		.amdhsa_enable_private_segment 0
		.amdhsa_system_sgpr_workgroup_id_x 1
		.amdhsa_system_sgpr_workgroup_id_y 0
		.amdhsa_system_sgpr_workgroup_id_z 0
		.amdhsa_system_sgpr_workgroup_info 0
		.amdhsa_system_vgpr_workitem_id 0
		.amdhsa_next_free_vgpr 344
		.amdhsa_next_free_sgpr 60
		.amdhsa_accum_offset 256
		.amdhsa_reserve_vcc 1
		.amdhsa_float_round_mode_32 0
		.amdhsa_float_round_mode_16_64 0
		.amdhsa_float_denorm_mode_32 3
		.amdhsa_float_denorm_mode_16_64 3
		.amdhsa_dx10_clamp 1
		.amdhsa_ieee_mode 1
		.amdhsa_fp16_overflow 0
		.amdhsa_tg_split 0
		.amdhsa_exception_fp_ieee_invalid_op 0
		.amdhsa_exception_fp_denorm_src 0
		.amdhsa_exception_fp_ieee_div_zero 0
		.amdhsa_exception_fp_ieee_overflow 0
		.amdhsa_exception_fp_ieee_underflow 0
		.amdhsa_exception_fp_ieee_inexact 0
		.amdhsa_exception_int_div_zero 0
	.end_amdhsa_kernel
	.text
.Lfunc_end0:
	.size	fft_rtc_fwd_len952_factors_17_4_2_7_wgs_204_tpt_68_halfLds_dp_op_CI_CI_unitstride_sbrr_C2R_dirReg, .Lfunc_end0-fft_rtc_fwd_len952_factors_17_4_2_7_wgs_204_tpt_68_halfLds_dp_op_CI_CI_unitstride_sbrr_C2R_dirReg
                                        ; -- End function
	.section	.AMDGPU.csdata,"",@progbits
; Kernel info:
; codeLenInByte = 16136
; NumSgprs: 66
; NumVgprs: 256
; NumAgprs: 88
; TotalNumVgprs: 344
; ScratchSize: 0
; MemoryBound: 0
; FloatMode: 240
; IeeeMode: 1
; LDSByteSize: 0 bytes/workgroup (compile time only)
; SGPRBlocks: 8
; VGPRBlocks: 42
; NumSGPRsForWavesPerEU: 66
; NumVGPRsForWavesPerEU: 344
; AccumOffset: 256
; Occupancy: 1
; WaveLimiterHint : 1
; COMPUTE_PGM_RSRC2:SCRATCH_EN: 0
; COMPUTE_PGM_RSRC2:USER_SGPR: 2
; COMPUTE_PGM_RSRC2:TRAP_HANDLER: 0
; COMPUTE_PGM_RSRC2:TGID_X_EN: 1
; COMPUTE_PGM_RSRC2:TGID_Y_EN: 0
; COMPUTE_PGM_RSRC2:TGID_Z_EN: 0
; COMPUTE_PGM_RSRC2:TIDIG_COMP_CNT: 0
; COMPUTE_PGM_RSRC3_GFX90A:ACCUM_OFFSET: 63
; COMPUTE_PGM_RSRC3_GFX90A:TG_SPLIT: 0
	.text
	.p2alignl 6, 3212836864
	.fill 256, 4, 3212836864
	.type	__hip_cuid_16640dc1a582a618,@object ; @__hip_cuid_16640dc1a582a618
	.section	.bss,"aw",@nobits
	.globl	__hip_cuid_16640dc1a582a618
__hip_cuid_16640dc1a582a618:
	.byte	0                               ; 0x0
	.size	__hip_cuid_16640dc1a582a618, 1

	.ident	"AMD clang version 19.0.0git (https://github.com/RadeonOpenCompute/llvm-project roc-6.4.0 25133 c7fe45cf4b819c5991fe208aaa96edf142730f1d)"
	.section	".note.GNU-stack","",@progbits
	.addrsig
	.addrsig_sym __hip_cuid_16640dc1a582a618
	.amdgpu_metadata
---
amdhsa.kernels:
  - .agpr_count:     88
    .args:
      - .actual_access:  read_only
        .address_space:  global
        .offset:         0
        .size:           8
        .value_kind:     global_buffer
      - .offset:         8
        .size:           8
        .value_kind:     by_value
      - .actual_access:  read_only
        .address_space:  global
        .offset:         16
        .size:           8
        .value_kind:     global_buffer
      - .actual_access:  read_only
        .address_space:  global
        .offset:         24
        .size:           8
        .value_kind:     global_buffer
      - .actual_access:  read_only
        .address_space:  global
        .offset:         32
        .size:           8
        .value_kind:     global_buffer
      - .offset:         40
        .size:           8
        .value_kind:     by_value
      - .actual_access:  read_only
        .address_space:  global
        .offset:         48
        .size:           8
        .value_kind:     global_buffer
      - .actual_access:  read_only
        .address_space:  global
        .offset:         56
        .size:           8
        .value_kind:     global_buffer
      - .offset:         64
        .size:           4
        .value_kind:     by_value
      - .actual_access:  read_only
        .address_space:  global
        .offset:         72
        .size:           8
        .value_kind:     global_buffer
      - .actual_access:  read_only
        .address_space:  global
        .offset:         80
        .size:           8
        .value_kind:     global_buffer
      - .actual_access:  read_only
        .address_space:  global
        .offset:         88
        .size:           8
        .value_kind:     global_buffer
      - .actual_access:  write_only
        .address_space:  global
        .offset:         96
        .size:           8
        .value_kind:     global_buffer
    .group_segment_fixed_size: 0
    .kernarg_segment_align: 8
    .kernarg_segment_size: 104
    .language:       OpenCL C
    .language_version:
      - 2
      - 0
    .max_flat_workgroup_size: 204
    .name:           fft_rtc_fwd_len952_factors_17_4_2_7_wgs_204_tpt_68_halfLds_dp_op_CI_CI_unitstride_sbrr_C2R_dirReg
    .private_segment_fixed_size: 0
    .sgpr_count:     66
    .sgpr_spill_count: 0
    .symbol:         fft_rtc_fwd_len952_factors_17_4_2_7_wgs_204_tpt_68_halfLds_dp_op_CI_CI_unitstride_sbrr_C2R_dirReg.kd
    .uniform_work_group_size: 1
    .uses_dynamic_stack: false
    .vgpr_count:     344
    .vgpr_spill_count: 0
    .wavefront_size: 64
amdhsa.target:   amdgcn-amd-amdhsa--gfx950
amdhsa.version:
  - 1
  - 2
...

	.end_amdgpu_metadata
